;; amdgpu-corpus repo=ROCm/rocFFT kind=compiled arch=gfx1201 opt=O3
	.text
	.amdgcn_target "amdgcn-amd-amdhsa--gfx1201"
	.amdhsa_code_object_version 6
	.protected	fft_rtc_fwd_len160_factors_4_10_4_wgs_192_tpt_16_dp_op_CI_CI_sbcc_twdbase6_3step_dirReg_intrinsicRead ; -- Begin function fft_rtc_fwd_len160_factors_4_10_4_wgs_192_tpt_16_dp_op_CI_CI_sbcc_twdbase6_3step_dirReg_intrinsicRead
	.globl	fft_rtc_fwd_len160_factors_4_10_4_wgs_192_tpt_16_dp_op_CI_CI_sbcc_twdbase6_3step_dirReg_intrinsicRead
	.p2align	8
	.type	fft_rtc_fwd_len160_factors_4_10_4_wgs_192_tpt_16_dp_op_CI_CI_sbcc_twdbase6_3step_dirReg_intrinsicRead,@function
fft_rtc_fwd_len160_factors_4_10_4_wgs_192_tpt_16_dp_op_CI_CI_sbcc_twdbase6_3step_dirReg_intrinsicRead: ; @fft_rtc_fwd_len160_factors_4_10_4_wgs_192_tpt_16_dp_op_CI_CI_sbcc_twdbase6_3step_dirReg_intrinsicRead
; %bb.0:
	s_clause 0x1
	s_load_b256 s[4:11], s[0:1], 0x8
	s_load_b64 s[26:27], s[0:1], 0x28
	s_mov_b32 s30, ttmp9
	s_mov_b32 s2, exec_lo
	v_cmpx_gt_u32_e32 0xc0, v0
	s_cbranch_execz .LBB0_2
; %bb.1:
	v_lshlrev_b32_e32 v5, 4, v0
	s_wait_kmcnt 0x0
	global_load_b128 v[1:4], v5, s[4:5]
	v_add3_u32 v5, 0, v5, 0x7800
	s_wait_loadcnt 0x0
	ds_store_2addr_b64 v5, v[1:2], v[3:4] offset1:1
.LBB0_2:
	s_or_b32 exec_lo, exec_lo, s2
	s_mov_b32 s31, 0
	s_mov_b32 s2, 0x55540000
	s_movk_i32 s3, 0x55
	s_wait_kmcnt 0x0
	s_mov_b32 s4, s31
	s_mov_b32 s5, s31
	;; [unrolled: 1-line block ×3, first 2 shown]
	s_add_nc_u64 s[4:5], s[4:5], s[2:3]
	s_load_b64 s[2:3], s[8:9], 0x8
	s_add_co_i32 s5, s5, 0x15555500
	s_mov_b64 s[22:23], 0
	s_mul_u64 s[12:13], s[4:5], -12
	s_delay_alu instid0(SALU_CYCLE_1)
	s_mul_hi_u32 s15, s4, s13
	s_mul_i32 s14, s4, s13
	s_mul_hi_u32 s16, s4, s12
	s_mul_hi_u32 s18, s5, s12
	s_mul_i32 s12, s5, s12
	s_add_nc_u64 s[14:15], s[16:17], s[14:15]
	s_mul_hi_u32 s16, s5, s13
	s_add_co_u32 s12, s14, s12
	s_add_co_ci_u32 s12, s15, s18
	s_add_co_ci_u32 s15, s16, 0
	s_mul_i32 s14, s5, s13
	s_mov_b32 s13, s31
	s_delay_alu instid0(SALU_CYCLE_1) | instskip(NEXT) | instid1(SALU_CYCLE_1)
	s_add_nc_u64 s[12:13], s[12:13], s[14:15]
	v_add_co_u32 v1, s4, s4, s12
	s_delay_alu instid0(VALU_DEP_1)
	s_cmp_lg_u32 s4, 0
	s_wait_kmcnt 0x0
	s_add_nc_u64 s[14:15], s[2:3], -1
	s_add_co_ci_u32 s17, s5, s13
	v_readfirstlane_b32 s16, v1
	s_mul_hi_u32 s5, s14, s17
	s_mul_i32 s4, s14, s17
	s_mov_b32 s13, s31
	s_delay_alu instid0(VALU_DEP_1)
	s_mul_hi_u32 s12, s14, s16
	s_wait_alu 0xfffe
	s_add_nc_u64 s[4:5], s[12:13], s[4:5]
	s_mul_i32 s13, s15, s16
	s_mul_hi_u32 s16, s15, s16
	s_mul_hi_u32 s12, s15, s17
	s_wait_alu 0xfffe
	s_add_co_u32 s4, s4, s13
	s_add_co_ci_u32 s4, s5, s16
	s_add_co_ci_u32 s13, s12, 0
	s_mul_i32 s12, s15, s17
	s_mov_b32 s5, s31
	s_wait_alu 0xfffe
	s_add_nc_u64 s[4:5], s[4:5], s[12:13]
	s_wait_alu 0xfffe
	s_mul_u64 s[12:13], s[4:5], 12
	s_wait_alu 0xfffe
	v_sub_co_u32 v1, s12, s14, s12
	s_delay_alu instid0(VALU_DEP_1) | instskip(SKIP_1) | instid1(VALU_DEP_1)
	s_cmp_lg_u32 s12, 0
	s_sub_co_ci_u32 s16, s15, s13
	v_sub_co_u32 v2, s14, v1, 12
	s_delay_alu instid0(VALU_DEP_1) | instskip(SKIP_2) | instid1(VALU_DEP_2)
	s_cmp_lg_u32 s14, 0
	v_readfirstlane_b32 s18, v1
	s_sub_co_ci_u32 s14, s16, 0
	v_readfirstlane_b32 s12, v2
	s_delay_alu instid0(VALU_DEP_1)
	s_cmp_gt_u32 s12, 11
	s_add_nc_u64 s[12:13], s[4:5], 1
	s_cselect_b32 s17, -1, 0
	s_wait_alu 0xfffe
	s_cmp_eq_u32 s14, 0
	s_add_nc_u64 s[14:15], s[4:5], 2
	s_cselect_b32 s17, s17, -1
	s_delay_alu instid0(SALU_CYCLE_1)
	s_cmp_lg_u32 s17, 0
	s_wait_alu 0xfffe
	s_cselect_b32 s12, s14, s12
	s_cselect_b32 s13, s15, s13
	s_cmp_gt_u32 s18, 11
	s_cselect_b32 s14, -1, 0
	s_cmp_eq_u32 s16, 0
	s_wait_alu 0xfffe
	s_cselect_b32 s14, s14, -1
	s_wait_alu 0xfffe
	s_cmp_lg_u32 s14, 0
	s_cselect_b32 s5, s13, s5
	s_cselect_b32 s4, s12, s4
	s_wait_alu 0xfffe
	s_add_nc_u64 s[4:5], s[4:5], 1
	s_wait_alu 0xfffe
	v_cmp_lt_u64_e64 s12, s[30:31], s[4:5]
	s_delay_alu instid0(VALU_DEP_1)
	s_and_b32 vcc_lo, exec_lo, s12
	s_cbranch_vccnz .LBB0_4
; %bb.3:
	v_cvt_f32_u32_e32 v1, s4
	s_sub_co_i32 s13, 0, s4
	s_mov_b32 s23, s31
	s_delay_alu instid0(VALU_DEP_1) | instskip(NEXT) | instid1(TRANS32_DEP_1)
	v_rcp_iflag_f32_e32 v1, v1
	v_mul_f32_e32 v1, 0x4f7ffffe, v1
	s_delay_alu instid0(VALU_DEP_1) | instskip(NEXT) | instid1(VALU_DEP_1)
	v_cvt_u32_f32_e32 v1, v1
	v_readfirstlane_b32 s12, v1
	s_wait_alu 0xfffe
	s_delay_alu instid0(VALU_DEP_1)
	s_mul_i32 s13, s13, s12
	s_wait_alu 0xfffe
	s_mul_hi_u32 s13, s12, s13
	s_wait_alu 0xfffe
	s_add_co_i32 s12, s12, s13
	s_wait_alu 0xfffe
	s_mul_hi_u32 s12, s30, s12
	s_wait_alu 0xfffe
	s_mul_i32 s13, s12, s4
	s_add_co_i32 s14, s12, 1
	s_wait_alu 0xfffe
	s_sub_co_i32 s13, s30, s13
	s_wait_alu 0xfffe
	s_sub_co_i32 s15, s13, s4
	s_cmp_ge_u32 s13, s4
	s_cselect_b32 s12, s14, s12
	s_wait_alu 0xfffe
	s_cselect_b32 s13, s15, s13
	s_add_co_i32 s14, s12, 1
	s_wait_alu 0xfffe
	s_cmp_ge_u32 s13, s4
	s_cselect_b32 s22, s14, s12
.LBB0_4:
	s_load_b128 s[16:19], s[10:11], 0x0
	s_load_b128 s[12:15], s[26:27], 0x0
	s_clause 0x1
	s_load_b64 s[28:29], s[0:1], 0x60
	s_load_b64 s[24:25], s[0:1], 0x0
	s_wait_kmcnt 0x0
	v_cmp_lt_u64_e64 s17, s[6:7], 3
	s_mul_u64 s[20:21], s[22:23], s[4:5]
	s_delay_alu instid0(SALU_CYCLE_1) | instskip(NEXT) | instid1(SALU_CYCLE_1)
	s_sub_nc_u64 s[20:21], s[30:31], s[20:21]
	s_mul_u64 s[36:37], s[20:21], 12
	s_delay_alu instid0(VALU_DEP_1)
	s_and_b32 vcc_lo, exec_lo, s17
	s_mul_u64 s[34:35], s[18:19], s[36:37]
	s_mul_u64 s[20:21], s[14:15], s[36:37]
	s_cbranch_vccnz .LBB0_14
; %bb.5:
	s_add_nc_u64 s[38:39], s[26:27], 16
	s_add_nc_u64 s[40:41], s[10:11], 16
	;; [unrolled: 1-line block ×3, first 2 shown]
	s_mov_b64 s[42:43], 2
	s_mov_b32 s44, 0
.LBB0_6:                                ; =>This Inner Loop Header: Depth=1
	s_load_b64 s[46:47], s[8:9], 0x0
                                        ; implicit-def: $sgpr50_sgpr51
	s_wait_kmcnt 0x0
	s_or_b64 s[48:49], s[22:23], s[46:47]
	s_delay_alu instid0(SALU_CYCLE_1)
	s_mov_b32 s45, s49
	s_mov_b32 s49, -1
	s_cmp_lg_u64 s[44:45], 0
	s_cbranch_scc0 .LBB0_8
; %bb.7:                                ;   in Loop: Header=BB0_6 Depth=1
	s_cvt_f32_u32 s17, s46
	s_cvt_f32_u32 s33, s47
	s_sub_nc_u64 s[52:53], 0, s[46:47]
	s_mov_b32 s49, 0
	s_mov_b32 s57, s44
	s_wait_alu 0xfffe
	s_fmamk_f32 s17, s33, 0x4f800000, s17
	s_wait_alu 0xfffe
	s_delay_alu instid0(SALU_CYCLE_2) | instskip(NEXT) | instid1(TRANS32_DEP_1)
	v_s_rcp_f32 s17, s17
	s_mul_f32 s17, s17, 0x5f7ffffc
	s_wait_alu 0xfffe
	s_delay_alu instid0(SALU_CYCLE_2) | instskip(NEXT) | instid1(SALU_CYCLE_3)
	s_mul_f32 s33, s17, 0x2f800000
	s_trunc_f32 s33, s33
	s_delay_alu instid0(SALU_CYCLE_3) | instskip(SKIP_2) | instid1(SALU_CYCLE_1)
	s_fmamk_f32 s17, s33, 0xcf800000, s17
	s_cvt_u32_f32 s51, s33
	s_wait_alu 0xfffe
	s_cvt_u32_f32 s50, s17
	s_wait_alu 0xfffe
	s_delay_alu instid0(SALU_CYCLE_2)
	s_mul_u64 s[54:55], s[52:53], s[50:51]
	s_wait_alu 0xfffe
	s_mul_hi_u32 s59, s50, s55
	s_mul_i32 s58, s50, s55
	s_mul_hi_u32 s48, s50, s54
	s_mul_i32 s33, s51, s54
	s_add_nc_u64 s[58:59], s[48:49], s[58:59]
	s_mul_hi_u32 s17, s51, s54
	s_mul_hi_u32 s45, s51, s55
	s_add_co_u32 s33, s58, s33
	s_wait_alu 0xfffe
	s_add_co_ci_u32 s56, s59, s17
	s_mul_i32 s54, s51, s55
	s_add_co_ci_u32 s55, s45, 0
	s_wait_alu 0xfffe
	s_add_nc_u64 s[54:55], s[56:57], s[54:55]
	s_wait_alu 0xfffe
	v_add_co_u32 v1, s17, s50, s54
	s_delay_alu instid0(VALU_DEP_1) | instskip(SKIP_1) | instid1(VALU_DEP_1)
	s_cmp_lg_u32 s17, 0
	s_add_co_ci_u32 s51, s51, s55
	v_readfirstlane_b32 s50, v1
	s_mov_b32 s55, s44
	s_wait_alu 0xfffe
	s_delay_alu instid0(VALU_DEP_1)
	s_mul_u64 s[52:53], s[52:53], s[50:51]
	s_wait_alu 0xfffe
	s_mul_hi_u32 s57, s50, s53
	s_mul_i32 s56, s50, s53
	s_mul_hi_u32 s48, s50, s52
	s_mul_i32 s33, s51, s52
	s_add_nc_u64 s[56:57], s[48:49], s[56:57]
	s_mul_hi_u32 s17, s51, s52
	s_mul_hi_u32 s45, s51, s53
	s_add_co_u32 s33, s56, s33
	s_wait_alu 0xfffe
	s_add_co_ci_u32 s54, s57, s17
	s_mul_i32 s52, s51, s53
	s_add_co_ci_u32 s53, s45, 0
	s_wait_alu 0xfffe
	s_add_nc_u64 s[52:53], s[54:55], s[52:53]
	s_wait_alu 0xfffe
	v_add_co_u32 v1, s17, v1, s52
	s_delay_alu instid0(VALU_DEP_1) | instskip(SKIP_1) | instid1(VALU_DEP_1)
	s_cmp_lg_u32 s17, 0
	s_add_co_ci_u32 s17, s51, s53
	v_readfirstlane_b32 s33, v1
	s_wait_alu 0xfffe
	s_mul_hi_u32 s51, s22, s17
	s_mul_i32 s50, s22, s17
	s_mul_hi_u32 s45, s23, s17
	s_mul_i32 s52, s23, s17
	;; [unrolled: 2-line block ×3, first 2 shown]
	s_wait_alu 0xfffe
	s_add_nc_u64 s[50:51], s[48:49], s[50:51]
	s_mul_hi_u32 s33, s23, s33
	s_wait_alu 0xfffe
	s_add_co_u32 s17, s50, s17
	s_add_co_ci_u32 s54, s51, s33
	s_add_co_ci_u32 s53, s45, 0
	s_wait_alu 0xfffe
	s_add_nc_u64 s[50:51], s[54:55], s[52:53]
	s_wait_alu 0xfffe
	s_mul_u64 s[52:53], s[46:47], s[50:51]
	s_add_nc_u64 s[54:55], s[50:51], 1
	s_wait_alu 0xfffe
	v_sub_co_u32 v1, s17, s22, s52
	s_sub_co_i32 s33, s23, s53
	s_cmp_lg_u32 s17, 0
	s_add_nc_u64 s[56:57], s[50:51], 2
	s_delay_alu instid0(VALU_DEP_1) | instskip(SKIP_2) | instid1(VALU_DEP_1)
	v_sub_co_u32 v2, s45, v1, s46
	s_sub_co_ci_u32 s33, s33, s47
	s_cmp_lg_u32 s45, 0
	v_readfirstlane_b32 s45, v2
	s_sub_co_ci_u32 s33, s33, 0
	s_delay_alu instid0(SALU_CYCLE_1) | instskip(SKIP_1) | instid1(VALU_DEP_1)
	s_cmp_ge_u32 s33, s47
	s_cselect_b32 s48, -1, 0
	s_cmp_ge_u32 s45, s46
	s_cselect_b32 s45, -1, 0
	s_cmp_eq_u32 s33, s47
	s_cselect_b32 s33, s45, s48
	s_delay_alu instid0(SALU_CYCLE_1)
	s_cmp_lg_u32 s33, 0
	s_cselect_b32 s33, s56, s54
	s_cselect_b32 s45, s57, s55
	s_cmp_lg_u32 s17, 0
	v_readfirstlane_b32 s17, v1
	s_sub_co_ci_u32 s48, s23, s53
	s_delay_alu instid0(SALU_CYCLE_1) | instskip(SKIP_1) | instid1(VALU_DEP_1)
	s_cmp_ge_u32 s48, s47
	s_cselect_b32 s52, -1, 0
	s_cmp_ge_u32 s17, s46
	s_cselect_b32 s17, -1, 0
	s_cmp_eq_u32 s48, s47
	s_wait_alu 0xfffe
	s_cselect_b32 s17, s17, s52
	s_wait_alu 0xfffe
	s_cmp_lg_u32 s17, 0
	s_cselect_b32 s51, s45, s51
	s_cselect_b32 s50, s33, s50
.LBB0_8:                                ;   in Loop: Header=BB0_6 Depth=1
	s_and_not1_b32 vcc_lo, exec_lo, s49
	s_cbranch_vccnz .LBB0_10
; %bb.9:                                ;   in Loop: Header=BB0_6 Depth=1
	v_cvt_f32_u32_e32 v1, s46
	s_sub_co_i32 s33, 0, s46
	s_mov_b32 s51, s44
	s_delay_alu instid0(VALU_DEP_1) | instskip(NEXT) | instid1(TRANS32_DEP_1)
	v_rcp_iflag_f32_e32 v1, v1
	v_mul_f32_e32 v1, 0x4f7ffffe, v1
	s_delay_alu instid0(VALU_DEP_1) | instskip(NEXT) | instid1(VALU_DEP_1)
	v_cvt_u32_f32_e32 v1, v1
	v_readfirstlane_b32 s17, v1
	s_delay_alu instid0(VALU_DEP_1) | instskip(NEXT) | instid1(SALU_CYCLE_1)
	s_mul_i32 s33, s33, s17
	s_mul_hi_u32 s33, s17, s33
	s_delay_alu instid0(SALU_CYCLE_1)
	s_add_co_i32 s17, s17, s33
	s_wait_alu 0xfffe
	s_mul_hi_u32 s17, s22, s17
	s_wait_alu 0xfffe
	s_mul_i32 s33, s17, s46
	s_add_co_i32 s45, s17, 1
	s_sub_co_i32 s33, s22, s33
	s_delay_alu instid0(SALU_CYCLE_1)
	s_sub_co_i32 s48, s33, s46
	s_cmp_ge_u32 s33, s46
	s_cselect_b32 s17, s45, s17
	s_cselect_b32 s33, s48, s33
	s_wait_alu 0xfffe
	s_add_co_i32 s45, s17, 1
	s_cmp_ge_u32 s33, s46
	s_cselect_b32 s50, s45, s17
.LBB0_10:                               ;   in Loop: Header=BB0_6 Depth=1
	s_load_b64 s[48:49], s[40:41], 0x0
	s_load_b64 s[52:53], s[38:39], 0x0
	s_add_nc_u64 s[42:43], s[42:43], 1
	s_mul_u64 s[4:5], s[46:47], s[4:5]
	s_wait_alu 0xfffe
	v_cmp_ge_u64_e64 s17, s[42:43], s[6:7]
	s_mul_u64 s[46:47], s[50:51], s[46:47]
	s_add_nc_u64 s[38:39], s[38:39], 8
	s_wait_alu 0xfffe
	s_sub_nc_u64 s[22:23], s[22:23], s[46:47]
	s_add_nc_u64 s[40:41], s[40:41], 8
	s_add_nc_u64 s[8:9], s[8:9], 8
	s_and_b32 vcc_lo, exec_lo, s17
	s_wait_kmcnt 0x0
	s_wait_alu 0xfffe
	s_mul_u64 s[46:47], s[48:49], s[22:23]
	s_mul_u64 s[22:23], s[52:53], s[22:23]
	s_wait_alu 0xfffe
	s_add_nc_u64 s[34:35], s[46:47], s[34:35]
	s_add_nc_u64 s[20:21], s[22:23], s[20:21]
	s_cbranch_vccnz .LBB0_12
; %bb.11:                               ;   in Loop: Header=BB0_6 Depth=1
	s_mov_b64 s[22:23], s[50:51]
	s_branch .LBB0_6
.LBB0_12:
	v_cmp_lt_u64_e64 s5, s[30:31], s[4:5]
	s_mov_b64 s[22:23], 0
	s_delay_alu instid0(VALU_DEP_1)
	s_and_b32 vcc_lo, exec_lo, s5
	s_cbranch_vccnz .LBB0_14
; %bb.13:
	v_cvt_f32_u32_e32 v1, s4
	s_sub_co_i32 s8, 0, s4
	s_mov_b32 s23, 0
	s_delay_alu instid0(VALU_DEP_1) | instskip(NEXT) | instid1(TRANS32_DEP_1)
	v_rcp_iflag_f32_e32 v1, v1
	v_mul_f32_e32 v1, 0x4f7ffffe, v1
	s_delay_alu instid0(VALU_DEP_1) | instskip(NEXT) | instid1(VALU_DEP_1)
	v_cvt_u32_f32_e32 v1, v1
	v_readfirstlane_b32 s5, v1
	s_delay_alu instid0(VALU_DEP_1) | instskip(NEXT) | instid1(SALU_CYCLE_1)
	s_mul_i32 s8, s8, s5
	s_mul_hi_u32 s8, s5, s8
	s_delay_alu instid0(SALU_CYCLE_1)
	s_add_co_i32 s5, s5, s8
	s_wait_alu 0xfffe
	s_mul_hi_u32 s5, s30, s5
	s_wait_alu 0xfffe
	s_mul_i32 s8, s5, s4
	s_add_co_i32 s9, s5, 1
	s_sub_co_i32 s8, s30, s8
	s_delay_alu instid0(SALU_CYCLE_1)
	s_sub_co_i32 s17, s8, s4
	s_cmp_ge_u32 s8, s4
	s_cselect_b32 s5, s9, s5
	s_wait_alu 0xfffe
	s_cselect_b32 s8, s17, s8
	s_add_co_i32 s9, s5, 1
	s_cmp_ge_u32 s8, s4
	s_cselect_b32 s22, s9, s5
.LBB0_14:
	v_mul_hi_u32 v115, 0x15555556, v0
	s_lshl_b64 s[6:7], s[6:7], 3
	s_load_b64 s[4:5], s[0:1], 0x68
	s_add_nc_u64 s[0:1], s[10:11], s[6:7]
	v_dual_mov_b32 v2, 0 :: v_dual_mov_b32 v3, 0
	s_load_b64 s[0:1], s[0:1], 0x0
	s_add_nc_u64 s[8:9], s[36:37], 12
	s_delay_alu instid0(VALU_DEP_2) | instskip(SKIP_1) | instid1(VALU_DEP_2)
	v_mul_u32_u24_e32 v1, 12, v115
	v_cmp_gt_u64_e64 s30, s[8:9], s[2:3]
	v_sub_nc_u32_e32 v117, v0, v1
	s_delay_alu instid0(VALU_DEP_1) | instskip(SKIP_1) | instid1(VALU_DEP_1)
	v_mad_co_u64_u32 v[49:50], null, s18, v117, 0
	v_add_co_u32 v61, s10, s36, v117
	v_add_co_ci_u32_e64 v62, null, s37, 0, s10
	v_mov_b32_e32 v4, 0
	v_cmp_le_u64_e64 s10, s[8:9], s[2:3]
	v_mov_b32_e32 v1, v50
	s_wait_kmcnt 0x0
	s_mul_u64 s[36:37], s[0:1], s[22:23]
	v_cmp_gt_u64_e64 s1, s[2:3], v[61:62]
	v_dual_mov_b32 v8, v4 :: v_dual_mov_b32 v7, v3
	v_mad_co_u64_u32 v[5:6], null, s19, v117, v[1:2]
	v_dual_mov_b32 v6, v4 :: v_dual_mov_b32 v5, v3
	s_wait_alu 0xfffe
	s_add_nc_u64 s[8:9], s[36:37], s[34:35]
	s_or_b32 s0, s10, s1
	s_delay_alu instid0(SALU_CYCLE_1)
	s_and_saveexec_b32 s2, s0
	s_cbranch_execz .LBB0_16
; %bb.15:
	v_mul_lo_u32 v1, s16, v115
	s_wait_alu 0xfffe
	s_delay_alu instid0(VALU_DEP_1) | instskip(NEXT) | instid1(VALU_DEP_1)
	v_add3_u32 v1, s8, v49, v1
	v_lshlrev_b64_e32 v[1:2], 4, v[1:2]
	s_delay_alu instid0(VALU_DEP_1) | instskip(NEXT) | instid1(VALU_DEP_2)
	v_add_co_u32 v1, vcc_lo, s28, v1
	v_add_co_ci_u32_e32 v2, vcc_lo, s29, v2, vcc_lo
	global_load_b128 v[5:8], v[1:2], off
.LBB0_16:
	s_wait_alu 0xfffe
	s_or_b32 exec_lo, exec_lo, s2
	v_dual_mov_b32 v1, v3 :: v_dual_add_nc_u32 v116, 40, v115
	v_mov_b32_e32 v2, v4
	s_and_saveexec_b32 s2, s0
	s_cbranch_execz .LBB0_18
; %bb.17:
	s_delay_alu instid0(VALU_DEP_2) | instskip(SKIP_1) | instid1(VALU_DEP_2)
	v_mul_lo_u32 v1, s16, v116
	v_mov_b32_e32 v2, 0
	v_add3_u32 v1, s8, v49, v1
	s_delay_alu instid0(VALU_DEP_1) | instskip(NEXT) | instid1(VALU_DEP_1)
	v_lshlrev_b64_e32 v[1:2], 4, v[1:2]
	v_add_co_u32 v1, vcc_lo, s28, v1
	s_wait_alu 0xfffd
	s_delay_alu instid0(VALU_DEP_2)
	v_add_co_ci_u32_e32 v2, vcc_lo, s29, v2, vcc_lo
	global_load_b128 v[1:4], v[1:2], off
.LBB0_18:
	s_wait_alu 0xfffe
	s_or_b32 exec_lo, exec_lo, s2
	v_dual_mov_b32 v11, 0 :: v_dual_add_nc_u32 v118, 0x50, v115
	v_mov_b32_e32 v12, 0
	s_delay_alu instid0(VALU_DEP_1)
	v_dual_mov_b32 v16, v12 :: v_dual_mov_b32 v15, v11
	v_dual_mov_b32 v14, v12 :: v_dual_mov_b32 v13, v11
	s_and_saveexec_b32 s2, s0
	s_cbranch_execz .LBB0_20
; %bb.19:
	v_mul_lo_u32 v9, s16, v118
	v_mov_b32_e32 v10, 0
	s_delay_alu instid0(VALU_DEP_2) | instskip(NEXT) | instid1(VALU_DEP_1)
	v_add3_u32 v9, s8, v49, v9
	v_lshlrev_b64_e32 v[9:10], 4, v[9:10]
	s_delay_alu instid0(VALU_DEP_1) | instskip(SKIP_1) | instid1(VALU_DEP_2)
	v_add_co_u32 v9, vcc_lo, s28, v9
	s_wait_alu 0xfffd
	v_add_co_ci_u32_e32 v10, vcc_lo, s29, v10, vcc_lo
	global_load_b128 v[13:16], v[9:10], off
.LBB0_20:
	s_wait_alu 0xfffe
	s_or_b32 exec_lo, exec_lo, s2
	v_mov_b32_e32 v9, v11
	v_dual_mov_b32 v10, v12 :: v_dual_add_nc_u32 v119, 0x78, v115
	s_and_saveexec_b32 s2, s0
	s_cbranch_execz .LBB0_22
; %bb.21:
	s_delay_alu instid0(VALU_DEP_1) | instskip(SKIP_1) | instid1(VALU_DEP_2)
	v_mul_lo_u32 v9, s16, v119
	v_mov_b32_e32 v10, 0
	v_add3_u32 v9, s8, v49, v9
	s_delay_alu instid0(VALU_DEP_1) | instskip(NEXT) | instid1(VALU_DEP_1)
	v_lshlrev_b64_e32 v[9:10], 4, v[9:10]
	v_add_co_u32 v9, vcc_lo, s28, v9
	s_wait_alu 0xfffd
	s_delay_alu instid0(VALU_DEP_2)
	v_add_co_ci_u32_e32 v10, vcc_lo, s29, v10, vcc_lo
	global_load_b128 v[9:12], v[9:10], off
.LBB0_22:
	s_wait_alu 0xfffe
	s_or_b32 exec_lo, exec_lo, s2
	v_dual_mov_b32 v19, 0 :: v_dual_add_nc_u32 v120, 16, v115
	v_mov_b32_e32 v20, 0
	s_delay_alu instid0(VALU_DEP_1)
	v_dual_mov_b32 v24, v20 :: v_dual_mov_b32 v23, v19
	v_dual_mov_b32 v22, v20 :: v_dual_mov_b32 v21, v19
	s_and_saveexec_b32 s2, s0
	s_cbranch_execz .LBB0_24
; %bb.23:
	v_mul_lo_u32 v17, s16, v120
	v_mov_b32_e32 v18, 0
	s_delay_alu instid0(VALU_DEP_2) | instskip(NEXT) | instid1(VALU_DEP_1)
	v_add3_u32 v17, s8, v49, v17
	v_lshlrev_b64_e32 v[17:18], 4, v[17:18]
	s_delay_alu instid0(VALU_DEP_1) | instskip(SKIP_1) | instid1(VALU_DEP_2)
	v_add_co_u32 v17, vcc_lo, s28, v17
	s_wait_alu 0xfffd
	v_add_co_ci_u32_e32 v18, vcc_lo, s29, v18, vcc_lo
	global_load_b128 v[21:24], v[17:18], off
.LBB0_24:
	s_wait_alu 0xfffe
	s_or_b32 exec_lo, exec_lo, s2
	v_dual_mov_b32 v17, v19 :: v_dual_mov_b32 v18, v20
	s_and_saveexec_b32 s2, s0
	s_cbranch_execz .LBB0_26
; %bb.25:
	v_dual_mov_b32 v18, 0 :: v_dual_add_nc_u32 v17, 56, v115
	s_delay_alu instid0(VALU_DEP_1) | instskip(NEXT) | instid1(VALU_DEP_1)
	v_mul_lo_u32 v17, s16, v17
	v_add3_u32 v17, s8, v49, v17
	s_delay_alu instid0(VALU_DEP_1) | instskip(NEXT) | instid1(VALU_DEP_1)
	v_lshlrev_b64_e32 v[17:18], 4, v[17:18]
	v_add_co_u32 v17, vcc_lo, s28, v17
	s_wait_alu 0xfffd
	s_delay_alu instid0(VALU_DEP_2)
	v_add_co_ci_u32_e32 v18, vcc_lo, s29, v18, vcc_lo
	global_load_b128 v[17:20], v[17:18], off
.LBB0_26:
	s_wait_alu 0xfffe
	s_or_b32 exec_lo, exec_lo, s2
	v_mov_b32_e32 v27, 0
	v_mov_b32_e32 v28, 0
	s_delay_alu instid0(VALU_DEP_1)
	v_dual_mov_b32 v32, v28 :: v_dual_mov_b32 v31, v27
	v_dual_mov_b32 v30, v28 :: v_dual_mov_b32 v29, v27
	s_and_saveexec_b32 s2, s0
	s_cbranch_execz .LBB0_28
; %bb.27:
	v_or_b32_e32 v25, 0x60, v115
	v_mov_b32_e32 v26, 0
	s_delay_alu instid0(VALU_DEP_2) | instskip(NEXT) | instid1(VALU_DEP_1)
	v_mul_lo_u32 v25, s16, v25
	v_add3_u32 v25, s8, v49, v25
	s_delay_alu instid0(VALU_DEP_1) | instskip(NEXT) | instid1(VALU_DEP_1)
	v_lshlrev_b64_e32 v[25:26], 4, v[25:26]
	v_add_co_u32 v25, vcc_lo, s28, v25
	s_wait_alu 0xfffd
	s_delay_alu instid0(VALU_DEP_2)
	v_add_co_ci_u32_e32 v26, vcc_lo, s29, v26, vcc_lo
	global_load_b128 v[29:32], v[25:26], off
.LBB0_28:
	s_wait_alu 0xfffe
	s_or_b32 exec_lo, exec_lo, s2
	v_dual_mov_b32 v25, v27 :: v_dual_mov_b32 v26, v28
	s_and_saveexec_b32 s2, s0
	s_cbranch_execz .LBB0_30
; %bb.29:
	v_dual_mov_b32 v26, 0 :: v_dual_add_nc_u32 v25, 0x88, v115
	s_delay_alu instid0(VALU_DEP_1) | instskip(NEXT) | instid1(VALU_DEP_1)
	v_mul_lo_u32 v25, s16, v25
	v_add3_u32 v25, s8, v49, v25
	s_delay_alu instid0(VALU_DEP_1) | instskip(NEXT) | instid1(VALU_DEP_1)
	v_lshlrev_b64_e32 v[25:26], 4, v[25:26]
	v_add_co_u32 v25, vcc_lo, s28, v25
	s_wait_alu 0xfffd
	s_delay_alu instid0(VALU_DEP_2)
	v_add_co_ci_u32_e32 v26, vcc_lo, s29, v26, vcc_lo
	global_load_b128 v[25:28], v[25:26], off
.LBB0_30:
	s_wait_alu 0xfffe
	s_or_b32 exec_lo, exec_lo, s2
	v_cmp_gt_u32_e64 s0, 0x60, v0
	v_cmp_lt_u32_e32 vcc_lo, 0x5f, v0
	v_cndmask_b32_e64 v34, 0, 1, s1
	v_mov_b32_e32 v35, 0
	v_or_b32_e32 v111, 32, v115
	v_cndmask_b32_e64 v33, 0, 1, s0
	s_or_b32 vcc_lo, vcc_lo, s10
	s_wait_alu 0xfffe
	s_delay_alu instid0(VALU_DEP_1) | instskip(SKIP_1) | instid1(VALU_DEP_2)
	v_dual_mov_b32 v36, 0 :: v_dual_cndmask_b32 v33, v34, v33
	v_mov_b32_e32 v34, 0
	v_dual_mov_b32 v40, v36 :: v_dual_mov_b32 v39, v35
	s_delay_alu instid0(VALU_DEP_3) | instskip(SKIP_1) | instid1(VALU_DEP_2)
	v_dual_mov_b32 v38, v36 :: v_dual_and_b32 v33, 1, v33
	v_mov_b32_e32 v37, v35
	v_cmp_eq_u32_e32 vcc_lo, 1, v33
	s_and_saveexec_b32 s3, vcc_lo
	s_cbranch_execz .LBB0_32
; %bb.31:
	v_mul_lo_u32 v33, s16, v111
	s_delay_alu instid0(VALU_DEP_1) | instskip(NEXT) | instid1(VALU_DEP_1)
	v_add3_u32 v33, s8, v49, v33
	v_lshlrev_b64_e32 v[33:34], 4, v[33:34]
	s_delay_alu instid0(VALU_DEP_1) | instskip(SKIP_1) | instid1(VALU_DEP_2)
	v_add_co_u32 v33, s2, s28, v33
	s_wait_alu 0xf1ff
	v_add_co_ci_u32_e64 v34, s2, s29, v34, s2
	global_load_b128 v[37:40], v[33:34], off
.LBB0_32:
	s_wait_alu 0xfffe
	s_or_b32 exec_lo, exec_lo, s3
	v_dual_mov_b32 v33, v35 :: v_dual_add_nc_u32 v112, 0x48, v115
	v_mov_b32_e32 v34, v36
	s_and_saveexec_b32 s3, vcc_lo
	s_cbranch_execz .LBB0_34
; %bb.33:
	s_delay_alu instid0(VALU_DEP_2) | instskip(SKIP_1) | instid1(VALU_DEP_2)
	v_mul_lo_u32 v33, s16, v112
	v_mov_b32_e32 v34, 0
	v_add3_u32 v33, s8, v49, v33
	s_delay_alu instid0(VALU_DEP_1) | instskip(NEXT) | instid1(VALU_DEP_1)
	v_lshlrev_b64_e32 v[33:34], 4, v[33:34]
	v_add_co_u32 v33, s2, s28, v33
	s_wait_alu 0xf1ff
	s_delay_alu instid0(VALU_DEP_2)
	v_add_co_ci_u32_e64 v34, s2, s29, v34, s2
	global_load_b128 v[33:36], v[33:34], off
.LBB0_34:
	s_wait_alu 0xfffe
	s_or_b32 exec_lo, exec_lo, s3
	v_dual_mov_b32 v43, 0 :: v_dual_mov_b32 v42, 0
	v_dual_mov_b32 v44, 0 :: v_dual_add_nc_u32 v113, 0x70, v115
	s_delay_alu instid0(VALU_DEP_1)
	v_dual_mov_b32 v48, v44 :: v_dual_mov_b32 v47, v43
	v_dual_mov_b32 v46, v44 :: v_dual_mov_b32 v45, v43
	s_and_saveexec_b32 s3, vcc_lo
	s_cbranch_execz .LBB0_36
; %bb.35:
	v_mul_lo_u32 v41, s16, v113
	s_delay_alu instid0(VALU_DEP_1) | instskip(NEXT) | instid1(VALU_DEP_1)
	v_add3_u32 v41, s8, v49, v41
	v_lshlrev_b64_e32 v[41:42], 4, v[41:42]
	s_delay_alu instid0(VALU_DEP_1) | instskip(SKIP_1) | instid1(VALU_DEP_2)
	v_add_co_u32 v41, s2, s28, v41
	s_wait_alu 0xf1ff
	v_add_co_ci_u32_e64 v42, s2, s29, v42, s2
	global_load_b128 v[45:48], v[41:42], off
.LBB0_36:
	s_wait_alu 0xfffe
	s_or_b32 exec_lo, exec_lo, s3
	v_dual_mov_b32 v41, v43 :: v_dual_add_nc_u32 v114, 0x98, v115
	v_mov_b32_e32 v42, v44
	s_add_nc_u64 s[2:3], s[26:27], s[6:7]
	s_and_saveexec_b32 s6, vcc_lo
	s_cbranch_execz .LBB0_38
; %bb.37:
	v_mul_lo_u32 v41, s16, v114
	v_mov_b32_e32 v42, 0
	s_delay_alu instid0(VALU_DEP_2) | instskip(NEXT) | instid1(VALU_DEP_1)
	v_add3_u32 v41, s8, v49, v41
	v_lshlrev_b64_e32 v[41:42], 4, v[41:42]
	s_delay_alu instid0(VALU_DEP_1) | instskip(SKIP_1) | instid1(VALU_DEP_2)
	v_add_co_u32 v41, vcc_lo, s28, v41
	s_wait_alu 0xfffd
	v_add_co_ci_u32_e32 v42, vcc_lo, s29, v42, vcc_lo
	global_load_b128 v[41:44], v[41:42], off
.LBB0_38:
	s_wait_alu 0xfffe
	s_or_b32 exec_lo, exec_lo, s6
	s_wait_loadcnt 0x0
	v_add_f64_e64 v[49:50], v[5:6], -v[13:14]
	v_add_f64_e64 v[51:52], v[7:8], -v[15:16]
	;; [unrolled: 1-line block ×12, first 2 shown]
	s_load_b64 s[2:3], s[2:3], 0x0
	v_cmp_gt_u32_e32 vcc_lo, 0x60, v0
	v_fma_f64 v[5:6], v[5:6], 2.0, -v[49:50]
	v_fma_f64 v[7:8], v[7:8], 2.0, -v[51:52]
	;; [unrolled: 1-line block ×8, first 2 shown]
	v_add_f64_e64 v[21:22], v[49:50], -v[11:12]
	v_add_f64_e32 v[23:24], v[51:52], v[15:16]
	v_add_f64_e32 v[27:28], v[55:56], v[29:30]
	v_fma_f64 v[11:12], v[37:38], 2.0, -v[9:10]
	v_fma_f64 v[15:16], v[39:40], 2.0, -v[13:14]
	v_add_f64_e64 v[25:26], v[53:54], -v[25:26]
	v_add_f64_e64 v[29:30], v[5:6], -v[1:2]
	;; [unrolled: 1-line block ×4, first 2 shown]
	v_add_f64_e32 v[3:4], v[13:14], v[62:63]
	v_add_f64_e64 v[41:42], v[57:58], -v[17:18]
	v_add_f64_e64 v[43:44], v[59:60], -v[19:20]
	v_fma_f64 v[17:18], v[33:34], 2.0, -v[62:63]
	v_fma_f64 v[19:20], v[35:36], 2.0, -v[45:46]
	;; [unrolled: 1-line block ×10, first 2 shown]
	v_add_f64_e64 v[5:6], v[11:12], -v[17:18]
	v_add_f64_e64 v[7:8], v[15:16], -v[19:20]
	v_mul_u32_u24_e32 v17, 48, v115
	s_delay_alu instid0(VALU_DEP_1) | instskip(SKIP_1) | instid1(VALU_DEP_2)
	v_lshl_add_u32 v20, v17, 4, 0
	v_lshlrev_b32_e32 v17, 4, v117
	v_add_nc_u32_e32 v19, 0x3000, v20
	s_delay_alu instid0(VALU_DEP_2) | instskip(NEXT) | instid1(VALU_DEP_2)
	v_add_nc_u32_e32 v18, v20, v17
	v_add_nc_u32_e32 v0, v19, v17
	ds_store_b128 v18, v[29:32] offset:384
	ds_store_b128 v18, v[21:24] offset:576
	ds_store_b128 v18, v[45:48]
	ds_store_b128 v18, v[33:36] offset:192
	ds_store_b128 v0, v[49:52]
	ds_store_b128 v0, v[37:40] offset:192
	ds_store_b128 v0, v[41:44] offset:384
	;; [unrolled: 1-line block ×3, first 2 shown]
	s_and_saveexec_b32 s6, vcc_lo
	s_cbranch_execz .LBB0_40
; %bb.39:
	v_fma_f64 v[23:24], v[15:16], 2.0, -v[7:8]
	v_fma_f64 v[21:22], v[11:12], 2.0, -v[5:6]
	v_fma_f64 v[13:14], v[13:14], 2.0, -v[3:4]
	v_fma_f64 v[11:12], v[9:10], 2.0, -v[1:2]
	v_lshl_add_u32 v0, v117, 4, v19
	ds_store_b128 v0, v[21:24] offset:12288
	ds_store_b128 v0, v[11:14] offset:12480
	;; [unrolled: 1-line block ×4, first 2 shown]
.LBB0_40:
	s_wait_alu 0xfffe
	s_or_b32 exec_lo, exec_lo, s6
	v_and_b32_e32 v18, 3, v115
	global_wb scope:SCOPE_SE
	s_wait_dscnt 0x0
	s_wait_kmcnt 0x0
	s_barrier_signal -1
	s_barrier_wait -1
	global_inv scope:SCOPE_SE
	v_mul_u32_u24_e32 v0, 9, v18
	s_mov_b32 s8, 0x134454ff
	s_mov_b32 s9, 0x3fee6f0e
	;; [unrolled: 1-line block ×3, first 2 shown]
	s_wait_alu 0xfffe
	s_mov_b32 s6, s8
	v_lshlrev_b32_e32 v0, 4, v0
	s_mov_b32 s16, 0x4755a5e
	s_mov_b32 s17, 0x3fe2cf23
	;; [unrolled: 1-line block ×3, first 2 shown]
	s_wait_alu 0xfffe
	s_mov_b32 s10, s16
	s_clause 0x8
	global_load_b128 v[9:12], v0, s[24:25] offset:32
	global_load_b128 v[13:16], v0, s[24:25] offset:64
	;; [unrolled: 1-line block ×4, first 2 shown]
	global_load_b128 v[29:32], v0, s[24:25]
	global_load_b128 v[33:36], v0, s[24:25] offset:16
	global_load_b128 v[37:40], v0, s[24:25] offset:48
	;; [unrolled: 1-line block ×4, first 2 shown]
	v_mul_i32_i24_e32 v0, 0xfffffdc0, v115
	s_mov_b32 s18, 0x372fe950
	s_mov_b32 s19, 0x3fd3c6ef
	;; [unrolled: 1-line block ×4, first 2 shown]
	v_add3_u32 v0, v20, v0, v17
	v_mul_i32_i24_e32 v20, 0xfffffdc0, v120
	ds_load_b128 v[50:53], v0 offset:9216
	ds_load_b128 v[54:57], v0 offset:15360
	ds_load_b128 v[62:65], v0 offset:21504
	ds_load_b128 v[66:69], v0 offset:27648
	v_add3_u32 v49, v19, v20, v17
	ds_load_b128 v[70:73], v0 offset:12288
	ds_load_b128 v[74:77], v0 offset:18432
	;; [unrolled: 1-line block ×3, first 2 shown]
	ds_load_b128 v[82:85], v0
	ds_load_b128 v[86:89], v49
	ds_load_b128 v[90:93], v49 offset:3072
	global_wb scope:SCOPE_SE
	s_wait_loadcnt_dscnt 0x0
	s_barrier_signal -1
	s_barrier_wait -1
	global_inv scope:SCOPE_SE
	v_mul_f64_e32 v[58:59], v[52:53], v[11:12]
	v_mul_f64_e32 v[11:12], v[50:51], v[11:12]
	;; [unrolled: 1-line block ×10, first 2 shown]
	v_fma_f64 v[50:51], v[50:51], v[9:10], -v[58:59]
	v_fma_f64 v[9:10], v[52:53], v[9:10], v[11:12]
	v_fma_f64 v[11:12], v[54:55], v[13:14], -v[94:95]
	v_fma_f64 v[13:14], v[56:57], v[13:14], v[15:16]
	v_fma_f64 v[15:16], v[64:65], v[21:22], v[96:97]
	;; [unrolled: 1-line block ×3, first 2 shown]
	v_fma_f64 v[21:22], v[62:63], v[21:22], -v[23:24]
	v_fma_f64 v[25:26], v[66:67], v[25:26], -v[27:28]
	v_mul_f64_e32 v[23:24], v[92:93], v[35:36]
	v_mul_f64_e32 v[27:28], v[72:73], v[39:40]
	;; [unrolled: 1-line block ×8, first 2 shown]
	v_fma_f64 v[19:20], v[86:87], v[29:30], -v[19:20]
	v_fma_f64 v[29:30], v[88:89], v[29:30], v[31:32]
	v_add_f64_e64 v[86:87], v[9:10], -v[13:14]
	v_add_f64_e32 v[31:32], v[13:14], v[15:16]
	v_add_f64_e32 v[58:59], v[9:10], v[52:53]
	;; [unrolled: 1-line block ×4, first 2 shown]
	v_fma_f64 v[23:24], v[90:91], v[33:34], -v[23:24]
	v_fma_f64 v[27:28], v[70:71], v[37:38], -v[27:28]
	v_fma_f64 v[37:38], v[72:73], v[37:38], v[39:40]
	v_fma_f64 v[39:40], v[74:75], v[41:42], -v[54:55]
	v_fma_f64 v[54:55], v[78:79], v[45:46], -v[56:57]
	v_fma_f64 v[41:42], v[76:77], v[41:42], v[43:44]
	v_fma_f64 v[33:34], v[92:93], v[33:34], v[35:36]
	;; [unrolled: 1-line block ×3, first 2 shown]
	v_add_f64_e64 v[43:44], v[9:10], -v[52:53]
	v_add_f64_e64 v[47:48], v[50:51], -v[25:26]
	;; [unrolled: 1-line block ×11, first 2 shown]
	v_add_f64_e32 v[9:10], v[29:30], v[9:10]
	v_fma_f64 v[31:32], v[31:32], -0.5, v[29:30]
	v_fma_f64 v[58:59], v[58:59], -0.5, v[29:30]
	v_fma_f64 v[64:65], v[64:65], -0.5, v[19:20]
	v_fma_f64 v[62:63], v[62:63], -0.5, v[19:20]
	v_add_f64_e32 v[102:103], v[82:83], v[23:24]
	v_add_f64_e32 v[19:20], v[19:20], v[50:51]
	;; [unrolled: 1-line block ×7, first 2 shown]
	v_add_f64_e64 v[29:30], v[33:34], -v[35:36]
	v_add_f64_e64 v[50:51], v[37:38], -v[41:42]
	v_add_f64_e64 v[106:107], v[23:24], -v[54:55]
	v_add_f64_e64 v[108:109], v[27:28], -v[39:40]
	v_add_f64_e32 v[74:75], v[74:75], v[76:77]
	v_add_f64_e32 v[76:77], v[78:79], v[80:81]
	v_add_f64_e32 v[78:79], v[86:87], v[88:89]
	v_add_f64_e32 v[80:81], v[90:91], v[92:93]
	v_add_f64_e32 v[9:10], v[9:10], v[13:14]
	v_add_f64_e64 v[90:91], v[35:36], -v[41:42]
	v_add_f64_e64 v[92:93], v[41:42], -v[35:36]
	v_fma_f64 v[94:95], v[47:48], s[6:7], v[31:32]
	v_fma_f64 v[96:97], v[56:57], s[8:9], v[58:59]
	v_fma_f64 v[100:101], v[43:44], s[6:7], v[64:65]
	v_fma_f64 v[64:65], v[43:44], s[8:9], v[64:65]
	v_fma_f64 v[98:99], v[45:46], s[8:9], v[62:63]
	v_fma_f64 v[62:63], v[45:46], s[6:7], v[62:63]
	v_fma_f64 v[58:59], v[56:57], s[6:7], v[58:59]
	v_fma_f64 v[31:32], v[47:48], s[8:9], v[31:32]
	v_fma_f64 v[66:67], v[66:67], -0.5, v[82:83]
	v_fma_f64 v[68:69], v[68:69], -0.5, v[82:83]
	;; [unrolled: 1-line block ×4, first 2 shown]
	v_add_f64_e32 v[11:12], v[19:20], v[11:12]
	v_add_f64_e32 v[9:10], v[9:10], v[15:16]
	s_wait_alu 0xfffe
	v_fma_f64 v[82:83], v[56:57], s[10:11], v[94:95]
	v_fma_f64 v[84:85], v[47:48], s[10:11], v[96:97]
	;; [unrolled: 1-line block ×8, first 2 shown]
	v_add_f64_e64 v[56:57], v[23:24], -v[27:28]
	v_add_f64_e64 v[23:24], v[27:28], -v[23:24]
	;; [unrolled: 1-line block ×4, first 2 shown]
	v_add_f64_e32 v[27:28], v[102:103], v[27:28]
	v_add_f64_e32 v[37:38], v[104:105], v[37:38]
	v_add_f64_e64 v[58:59], v[54:55], -v[39:40]
	v_add_f64_e64 v[62:63], v[39:40], -v[54:55]
	v_fma_f64 v[13:14], v[29:30], s[8:9], v[66:67]
	v_fma_f64 v[19:20], v[29:30], s[6:7], v[66:67]
	;; [unrolled: 1-line block ×8, first 2 shown]
	v_add_f64_e32 v[11:12], v[11:12], v[21:22]
	v_add_f64_e32 v[9:10], v[9:10], v[52:53]
	v_fma_f64 v[82:83], v[78:79], s[18:19], v[82:83]
	v_fma_f64 v[84:85], v[80:81], s[18:19], v[84:85]
	;; [unrolled: 1-line block ×8, first 2 shown]
	v_add_f64_e32 v[33:34], v[33:34], v[92:93]
	v_add_f64_e32 v[27:28], v[27:28], v[39:40]
	v_add_f64_e32 v[37:38], v[37:38], v[41:42]
	v_add_f64_e32 v[56:57], v[56:57], v[58:59]
	v_add_f64_e32 v[23:24], v[23:24], v[62:63]
	v_add_f64_e32 v[58:59], v[64:65], v[90:91]
	v_fma_f64 v[13:14], v[50:51], s[16:17], v[13:14]
	v_fma_f64 v[15:16], v[50:51], s[10:11], v[19:20]
	;; [unrolled: 1-line block ×8, first 2 shown]
	v_add_f64_e32 v[11:12], v[11:12], v[25:26]
	v_mul_f64_e32 v[62:63], s[16:17], v[82:83]
	v_mul_f64_e32 v[64:65], s[8:9], v[84:85]
	;; [unrolled: 1-line block ×8, first 2 shown]
	v_add_f64_e32 v[27:28], v[27:28], v[54:55]
	v_add_f64_e32 v[35:36], v[37:38], v[35:36]
	v_fma_f64 v[13:14], v[56:57], s[18:19], v[13:14]
	v_fma_f64 v[15:16], v[56:57], s[18:19], v[15:16]
	;; [unrolled: 1-line block ×10, first 2 shown]
	v_fma_f64 v[62:63], v[31:32], s[16:17], -v[68:69]
	v_fma_f64 v[64:65], v[82:83], s[26:27], v[70:71]
	v_fma_f64 v[47:48], v[47:48], s[8:9], -v[66:67]
	v_fma_f64 v[66:67], v[84:85], s[18:19], v[72:73]
	v_fma_f64 v[68:69], v[86:87], s[6:7], -v[74:75]
	v_fma_f64 v[70:71], v[88:89], s[10:11], -v[76:77]
	v_add_f64_e32 v[19:20], v[27:28], v[11:12]
	v_add_f64_e32 v[21:22], v[35:36], v[9:10]
	v_add_f64_e64 v[23:24], v[27:28], -v[11:12]
	v_add_f64_e64 v[25:26], v[35:36], -v[9:10]
	v_add_f64_e32 v[27:28], v[13:14], v[45:46]
	v_add_f64_e32 v[31:32], v[52:53], v[50:51]
	;; [unrolled: 1-line block ×8, first 2 shown]
	v_add_f64_e64 v[43:44], v[13:14], -v[45:46]
	v_add_f64_e64 v[45:46], v[56:57], -v[64:65]
	;; [unrolled: 1-line block ×8, first 2 shown]
	v_lshrrev_b32_e32 v47, 2, v115
	s_delay_alu instid0(VALU_DEP_1) | instskip(NEXT) | instid1(VALU_DEP_1)
	v_mul_u32_u24_e32 v47, 40, v47
	v_or_b32_e32 v18, v47, v18
	s_delay_alu instid0(VALU_DEP_1) | instskip(NEXT) | instid1(VALU_DEP_1)
	v_mul_u32_u24_e32 v18, 0xc0, v18
	v_add3_u32 v17, 0, v18, v17
	ds_store_b128 v17, v[19:22]
	ds_store_b128 v17, v[27:30] offset:768
	ds_store_b128 v17, v[31:34] offset:1536
	;; [unrolled: 1-line block ×9, first 2 shown]
	global_wb scope:SCOPE_SE
	s_wait_dscnt 0x0
	s_barrier_signal -1
	s_barrier_wait -1
	global_inv scope:SCOPE_SE
	ds_load_b128 v[17:20], v0
	ds_load_b128 v[45:48], v0 offset:7680
	ds_load_b128 v[41:44], v0 offset:15360
	ds_load_b128 v[29:32], v0 offset:10752
	ds_load_b128 v[37:40], v0 offset:23040
	ds_load_b128 v[33:36], v0 offset:18432
	ds_load_b128 v[21:24], v49
	ds_load_b128 v[25:28], v0 offset:26112
	s_and_saveexec_b32 s6, vcc_lo
	s_cbranch_execz .LBB0_42
; %bb.41:
	v_add_nc_u32_e32 v1, 0xc00, v49
	ds_load_b128 v[13:16], v0 offset:13824
	ds_load_b128 v[5:8], v0 offset:21504
	ds_load_b128 v[9:12], v1
	ds_load_b128 v[1:4], v0 offset:29184
.LBB0_42:
	s_wait_alu 0xfffe
	s_or_b32 exec_lo, exec_lo, s6
	v_mul_hi_u32 v0, 0x6666667, v120
	v_mul_u32_u24_e32 v49, 3, v115
	s_add_co_i32 s6, 0, 0x7800
	v_mul_lo_u32 v110, v61, 40
	s_mul_u64 s[2:3], s[2:3], s[22:23]
	s_delay_alu instid0(VALU_DEP_2) | instskip(SKIP_3) | instid1(VALU_DEP_1)
	v_lshlrev_b32_e32 v51, 4, v49
	s_wait_alu 0xfffe
	s_add_nc_u64 s[2:3], s[2:3], s[20:21]
	v_mul_u32_u24_e32 v50, 40, v0
	v_sub_nc_u32_e32 v52, v120, v50
	v_mov_b32_e32 v50, 0
	s_clause 0x2
	global_load_b128 v[62:65], v51, s[24:25] offset:576
	global_load_b128 v[66:69], v51, s[24:25] offset:592
	;; [unrolled: 1-line block ×3, first 2 shown]
	v_mul_hi_u32 v51, 0x6666667, v111
	v_mul_i32_i24_e32 v49, 3, v52
	v_mul_lo_u32 v52, v52, v61
	s_delay_alu instid0(VALU_DEP_2) | instskip(NEXT) | instid1(VALU_DEP_4)
	v_lshlrev_b64_e32 v[49:50], 4, v[49:50]
	v_mul_u32_u24_e32 v51, 40, v51
	s_delay_alu instid0(VALU_DEP_3) | instskip(SKIP_1) | instid1(VALU_DEP_4)
	v_lshrrev_b32_e32 v128, 2, v52
	v_and_b32_e32 v135, 63, v52
	v_add_co_u32 v49, vcc_lo, s24, v49
	s_wait_alu 0xfffd
	v_add_co_ci_u32_e32 v50, vcc_lo, s25, v50, vcc_lo
	v_sub_nc_u32_e32 v163, v111, v51
	v_add_nc_u32_e32 v136, v52, v110
	v_lshrrev_b32_e32 v137, 8, v52
	s_clause 0x2
	global_load_b128 v[74:77], v[49:50], off offset:592
	global_load_b128 v[78:81], v[49:50], off offset:576
	;; [unrolled: 1-line block ×3, first 2 shown]
	v_mul_lo_u32 v49, v115, v61
	v_mul_u32_u24_e32 v58, 3, v163
	v_lshl_add_u32 v149, v135, 4, 0
	v_lshrrev_b32_e32 v145, 2, v136
	v_and_b32_e32 v146, 63, v136
	v_add_nc_u32_e32 v153, v136, v110
	v_lshlrev_b32_e32 v58, 4, v58
	v_lshrrev_b32_e32 v154, 8, v136
	v_lshrrev_b32_e32 v50, 2, v49
	v_and_b32_e32 v53, 63, v49
	v_add_nc_u32_e32 v54, v49, v110
	v_lshrrev_b32_e32 v49, 8, v49
	v_and_b32_e32 v164, 0x3f0, v137
	v_and_b32_e32 v50, 0x3f0, v50
	v_lshl_add_u32 v53, v53, 4, 0
	v_lshrrev_b32_e32 v55, 2, v54
	v_lshrrev_b32_e32 v51, 8, v54
	v_and_b32_e32 v49, 0x3f0, v49
	v_add_nc_u32_e32 v50, s6, v50
	v_and_b32_e32 v128, 0x3f0, v128
	v_and_b32_e32 v159, 0x3f0, v145
	ds_load_b128 v[86:89], v53 offset:30720
	ds_load_b128 v[90:93], v50 offset:1024
	v_add_nc_u32_e32 v53, v54, v110
	v_and_b32_e32 v50, 63, v54
	v_and_b32_e32 v54, 0x3f0, v55
	;; [unrolled: 1-line block ×3, first 2 shown]
	v_add_nc_u32_e32 v49, s6, v49
	v_lshrrev_b32_e32 v55, 2, v53
	v_and_b32_e32 v56, 63, v53
	v_add_nc_u32_e32 v57, v53, v110
	v_lshl_add_u32 v50, v50, 4, 0
	v_lshrrev_b32_e32 v53, 8, v53
	v_add_nc_u32_e32 v100, s6, v54
	v_and_b32_e32 v54, 0x3f0, v55
	v_lshl_add_u32 v123, v56, 4, 0
	v_lshrrev_b32_e32 v55, 2, v57
	v_and_b32_e32 v56, 63, v57
	v_add_nc_u32_e32 v104, s6, v51
	v_and_b32_e32 v124, 0x3f0, v53
	v_lshrrev_b32_e32 v127, 8, v57
	v_add_nc_u32_e32 v138, s6, v54
	s_wait_dscnt 0x0
	v_mul_f64_e32 v[108:109], v[88:89], v[92:93]
	v_mul_f64_e32 v[121:122], v[86:87], v[92:93]
	ds_load_b128 v[92:95], v50 offset:30720
	ds_load_b128 v[96:99], v49 offset:2048
	v_and_b32_e32 v139, 0x3f0, v55
	v_lshl_add_u32 v143, v56, 4, 0
	s_clause 0x2
	global_load_b128 v[49:52], v58, s[24:25] offset:608
	global_load_b128 v[53:56], v58, s[24:25] offset:592
	global_load_b128 v[57:60], v58, s[24:25] offset:576
	ds_load_b128 v[100:103], v100 offset:1024
	ds_load_b128 v[104:107], v104 offset:2048
	v_add_nc_u32_e32 v144, s6, v124
	v_and_b32_e32 v127, 0x3f0, v127
	v_add_nc_u32_e32 v147, s6, v139
	v_add_nc_u32_e32 v150, s6, v128
	v_lshl_add_u32 v165, v146, 4, 0
	v_and_b32_e32 v166, 0x3f0, v154
	v_add_nc_u32_e32 v155, s6, v127
	s_and_b32 vcc_lo, exec_lo, s30
	s_wait_dscnt 0x1
	v_mul_f64_e32 v[145:146], v[94:95], v[102:103]
	v_mul_f64_e32 v[102:103], v[92:93], v[102:103]
	v_fma_f64 v[108:109], v[86:87], v[90:91], -v[108:109]
	v_fma_f64 v[135:136], v[88:89], v[90:91], v[121:122]
	ds_load_b128 v[86:89], v123 offset:30720
	ds_load_b128 v[121:124], v138 offset:1024
	v_fma_f64 v[145:146], v[92:93], v[100:101], -v[145:146]
	v_fma_f64 v[94:95], v[94:95], v[100:101], v[102:103]
	v_add_nc_u32_e32 v92, s6, v166
	s_wait_loadcnt 0x7
	v_mul_f64_e32 v[129:130], v[43:44], v[68:69]
	v_mul_f64_e32 v[125:126], v[47:48], v[64:65]
	;; [unrolled: 1-line block ×4, first 2 shown]
	s_wait_loadcnt 0x6
	v_mul_f64_e32 v[131:132], v[39:40], v[72:73]
	v_mul_f64_e32 v[72:73], v[37:38], v[72:73]
	s_wait_loadcnt 0x5
	v_mul_f64_e32 v[133:134], v[35:36], v[76:77]
	v_mul_f64_e32 v[76:77], v[33:34], v[76:77]
	;; [unrolled: 3-line block ×4, first 2 shown]
	v_fma_f64 v[129:130], v[41:42], v[66:67], -v[129:130]
	v_fma_f64 v[139:140], v[45:46], v[62:63], -v[125:126]
	v_fma_f64 v[141:142], v[47:48], v[62:63], v[64:65]
	ds_load_b128 v[45:48], v143 offset:30720
	ds_load_b128 v[62:65], v144 offset:2048
	ds_load_b128 v[125:128], v147 offset:1024
	v_fma_f64 v[143:144], v[43:44], v[66:67], v[68:69]
	v_fma_f64 v[131:132], v[37:38], v[70:71], -v[131:132]
	v_fma_f64 v[147:148], v[39:40], v[70:71], v[72:73]
	ds_load_b128 v[37:40], v149 offset:30720
	ds_load_b128 v[41:44], v150 offset:1024
	v_add_nc_u32_e32 v67, v153, v110
	v_lshrrev_b32_e32 v66, 2, v153
	s_wait_dscnt 0x5
	v_mul_f64_e32 v[149:150], v[88:89], v[123:124]
	v_mul_f64_e32 v[123:124], v[86:87], v[123:124]
	v_and_b32_e32 v70, 63, v153
	v_lshrrev_b32_e32 v71, 8, v153
	v_add_nc_u32_e32 v72, s6, v159
	v_lshrrev_b32_e32 v68, 2, v67
	v_and_b32_e32 v69, 63, v67
	v_fma_f64 v[133:134], v[33:34], v[74:75], -v[133:134]
	v_fma_f64 v[151:152], v[35:36], v[74:75], v[76:77]
	ds_load_b128 v[33:36], v155 offset:2048
	v_fma_f64 v[157:158], v[31:32], v[78:79], v[80:81]
	v_fma_f64 v[137:138], v[25:26], v[82:83], -v[137:138]
	s_wait_dscnt 0x3
	v_mul_f64_e32 v[153:154], v[47:48], v[127:128]
	v_fma_f64 v[161:162], v[27:28], v[82:83], v[84:85]
	ds_load_b128 v[25:28], v165 offset:30720
	v_fma_f64 v[155:156], v[29:30], v[78:79], -v[90:91]
	v_mul_f64_e32 v[90:91], v[45:46], v[127:128]
	s_wait_dscnt 0x2
	v_mul_f64_e32 v[127:128], v[39:40], v[43:44]
	v_mul_f64_e32 v[159:160], v[37:38], v[43:44]
	v_and_b32_e32 v68, 0x3f0, v68
	v_and_b32_e32 v43, 0x3f0, v66
	v_lshl_add_u32 v29, v69, 4, 0
	v_lshl_add_u32 v74, v70, 4, 0
	v_and_b32_e32 v75, 0x3f0, v71
	v_add_nc_u32_e32 v68, s6, v68
	v_add_nc_u32_e32 v43, s6, v43
	v_lshrrev_b32_e32 v44, 8, v67
	ds_load_b128 v[29:32], v29 offset:30720
	ds_load_b128 v[66:69], v68 offset:1024
	;; [unrolled: 1-line block ×3, first 2 shown]
	v_add_nc_u32_e32 v82, s6, v75
	ds_load_b128 v[74:77], v74 offset:30720
	ds_load_b128 v[78:81], v43 offset:1024
	v_add_f64_e64 v[131:132], v[139:140], -v[131:132]
	v_and_b32_e32 v44, 0x3f0, v44
	ds_load_b128 v[82:85], v82 offset:2048
	v_fma_f64 v[100:101], v[86:87], v[121:122], -v[149:150]
	v_fma_f64 v[102:103], v[88:89], v[121:122], v[123:124]
	v_add_f64_e64 v[121:122], v[17:18], -v[129:130]
	v_add_f64_e64 v[123:124], v[19:20], -v[143:144]
	v_add_nc_u32_e32 v43, s6, v44
	v_add_f64_e64 v[129:130], v[21:22], -v[133:134]
	ds_load_b128 v[86:89], v43 offset:2048
	v_add_f64_e64 v[133:134], v[23:24], -v[151:152]
	s_wait_dscnt 0x5
	v_mul_f64_e32 v[143:144], v[31:32], v[68:69]
	v_mul_f64_e32 v[68:69], v[29:30], v[68:69]
	v_fma_f64 v[149:150], v[45:46], v[125:126], -v[153:154]
	v_add_nc_u32_e32 v43, s6, v164
	v_add_f64_e64 v[137:138], v[155:156], -v[137:138]
	v_fma_f64 v[47:48], v[47:48], v[125:126], v[90:91]
	s_wait_dscnt 0x4
	v_mul_f64_e32 v[125:126], v[27:28], v[72:73]
	v_fma_f64 v[37:38], v[37:38], v[41:42], -v[127:128]
	v_fma_f64 v[39:40], v[39:40], v[41:42], v[159:160]
	s_wait_dscnt 0x2
	v_mul_f64_e32 v[41:42], v[76:77], v[80:81]
	v_add_f64_e64 v[127:128], v[141:142], -v[147:148]
	v_add_f64_e64 v[147:148], v[157:158], -v[161:162]
	v_mul_f64_e32 v[72:73], v[25:26], v[72:73]
	v_mul_f64_e32 v[80:81], v[74:75], v[80:81]
	ds_load_b128 v[43:46], v43 offset:2048
	ds_load_b128 v[90:93], v92 offset:2048
	v_fma_f64 v[17:18], v[17:18], 2.0, -v[121:122]
	v_fma_f64 v[19:20], v[19:20], 2.0, -v[123:124]
	;; [unrolled: 1-line block ×4, first 2 shown]
	v_fma_f64 v[29:30], v[29:30], v[66:67], -v[143:144]
	v_fma_f64 v[31:32], v[31:32], v[66:67], v[68:69]
	v_mul_f64_e32 v[68:69], v[100:101], v[64:65]
	v_mul_f64_e32 v[64:65], v[102:103], v[64:65]
	v_fma_f64 v[25:26], v[25:26], v[70:71], -v[125:126]
	v_fma_f64 v[125:126], v[139:140], 2.0, -v[131:132]
	v_fma_f64 v[41:42], v[74:75], v[78:79], -v[41:42]
	v_fma_f64 v[74:75], v[141:142], 2.0, -v[127:128]
	v_fma_f64 v[139:140], v[157:158], 2.0, -v[147:148]
	;; [unrolled: 1-line block ×3, first 2 shown]
	v_fma_f64 v[27:28], v[27:28], v[70:71], v[72:73]
	v_mul_f64_e32 v[70:71], v[108:109], v[98:99]
	v_mul_f64_e32 v[72:73], v[145:146], v[106:107]
	v_fma_f64 v[76:77], v[76:77], v[78:79], v[80:81]
	v_mul_f64_e32 v[78:79], v[149:150], v[35:36]
	v_add_f64_e32 v[80:81], v[123:124], v[131:132]
	v_add_f64_e64 v[127:128], v[121:122], -v[127:128]
	s_wait_dscnt 0x1
	v_mul_f64_e32 v[131:132], v[37:38], v[45:46]
	v_add_f64_e32 v[137:138], v[133:134], v[137:138]
	v_add_f64_e64 v[147:148], v[129:130], -v[147:148]
	v_mul_f64_e32 v[98:99], v[135:136], v[98:99]
	v_mul_f64_e32 v[106:107], v[94:95], v[106:107]
	;; [unrolled: 1-line block ×5, first 2 shown]
	v_fma_f64 v[68:69], v[62:63], v[102:103], v[68:69]
	s_wait_dscnt 0x0
	v_mul_f64_e32 v[143:144], v[25:26], v[92:93]
	v_add_f64_e64 v[125:126], v[17:18], -v[125:126]
	v_mul_f64_e32 v[151:152], v[41:42], v[84:85]
	v_add_f64_e64 v[74:75], v[19:20], -v[74:75]
	v_add_f64_e64 v[139:140], v[23:24], -v[139:140]
	v_add_f64_e64 v[141:142], v[21:22], -v[141:142]
	v_mul_f64_e32 v[92:93], v[27:28], v[92:93]
	v_fma_f64 v[70:71], v[96:97], v[135:136], v[70:71]
	v_fma_f64 v[72:73], v[104:105], v[94:95], v[72:73]
	;; [unrolled: 1-line block ×3, first 2 shown]
	v_mul_f64_e32 v[78:79], v[76:77], v[84:85]
	v_fma_f64 v[94:95], v[123:124], 2.0, -v[80:81]
	v_fma_f64 v[102:103], v[121:122], 2.0, -v[127:128]
	v_fma_f64 v[39:40], v[43:44], v[39:40], v[131:132]
	v_fma_f64 v[121:122], v[133:134], 2.0, -v[137:138]
	v_fma_f64 v[123:124], v[129:130], 2.0, -v[147:148]
	v_fma_f64 v[108:109], v[96:97], v[108:109], -v[98:99]
	v_fma_f64 v[104:105], v[104:105], v[145:146], -v[106:107]
	;; [unrolled: 1-line block ×3, first 2 shown]
	v_fma_f64 v[66:67], v[86:87], v[31:32], v[66:67]
	v_mul_f64_e32 v[31:32], v[31:32], v[88:89]
	v_fma_f64 v[27:28], v[90:91], v[27:28], v[143:144]
	v_fma_f64 v[131:132], v[17:18], 2.0, -v[125:126]
	v_mul_lo_u32 v17, v163, v61
	v_fma_f64 v[76:77], v[82:83], v[76:77], v[151:152]
	v_fma_f64 v[129:130], v[19:20], 2.0, -v[74:75]
	v_fma_f64 v[133:134], v[23:24], 2.0, -v[139:140]
	;; [unrolled: 1-line block ×3, first 2 shown]
	v_fma_f64 v[61:62], v[62:63], v[100:101], -v[64:65]
	v_fma_f64 v[63:64], v[33:34], v[149:150], -v[35:36]
	;; [unrolled: 1-line block ×3, first 2 shown]
	v_mul_f64_e32 v[106:107], v[74:75], v[68:69]
	v_and_b32_e32 v18, 63, v17
	v_fma_f64 v[41:42], v[82:83], v[41:42], -v[78:79]
	v_mul_f64_e32 v[78:79], v[80:81], v[47:48]
	v_mul_f64_e32 v[47:48], v[127:128], v[47:48]
	;; [unrolled: 1-line block ×4, first 2 shown]
	v_lshrrev_b32_e32 v19, 2, v17
	v_lshrrev_b32_e32 v20, 8, v17
	v_add_nc_u32_e32 v17, v17, v110
	v_lshl_add_u32 v18, v18, 4, 0
	s_delay_alu instid0(VALU_DEP_4) | instskip(NEXT) | instid1(VALU_DEP_4)
	v_and_b32_e32 v19, 0x3f0, v19
	v_and_b32_e32 v20, 0x3f0, v20
	s_delay_alu instid0(VALU_DEP_4)
	v_and_b32_e32 v21, 63, v17
	v_lshrrev_b32_e32 v22, 2, v17
	v_lshrrev_b32_e32 v23, 8, v17
	v_add_nc_u32_e32 v17, v17, v110
	v_add_nc_u32_e32 v19, s6, v19
	v_add_nc_u32_e32 v20, s6, v20
	v_and_b32_e32 v22, 0x3f0, v22
	v_mul_f64_e32 v[89:90], v[137:138], v[66:67]
	v_fma_f64 v[82:83], v[86:87], v[29:30], -v[31:32]
	v_mul_f64_e32 v[65:66], v[147:148], v[66:67]
	v_mul_f64_e32 v[67:68], v[125:126], v[68:69]
	v_add_nc_u32_e32 v110, v17, v110
	v_lshrrev_b32_e32 v159, 8, v17
	v_and_b32_e32 v23, 0x3f0, v23
	v_mul_f64_e32 v[143:144], v[121:122], v[27:28]
	v_mul_f64_e32 v[145:146], v[123:124], v[27:28]
	v_lshl_add_u32 v21, v21, 4, 0
	v_mul_f64_e32 v[149:150], v[139:140], v[76:77]
	v_mul_f64_e32 v[151:152], v[141:142], v[76:77]
	;; [unrolled: 1-line block ×6, first 2 shown]
	v_lshrrev_b32_e32 v76, 2, v17
	v_and_b32_e32 v71, 63, v17
	v_add_nc_u32_e32 v22, s6, v22
	v_add_nc_u32_e32 v23, s6, v23
	v_fma_f64 v[85:86], v[127:128], v[63:64], -v[78:79]
	v_fma_f64 v[87:88], v[80:81], v[63:64], v[47:48]
	v_fma_f64 v[97:98], v[102:103], v[104:105], -v[91:92]
	v_fma_f64 v[99:100], v[94:95], v[104:105], v[72:73]
	v_fma_f64 v[101:102], v[125:126], v[61:62], -v[106:107]
	ds_load_b128 v[25:28], v18 offset:30720
	ds_load_b128 v[29:32], v19 offset:1024
	;; [unrolled: 1-line block ×6, first 2 shown]
	v_fma_f64 v[77:78], v[147:148], v[82:83], -v[89:90]
	v_fma_f64 v[79:80], v[137:138], v[82:83], v[65:66]
	v_fma_f64 v[103:104], v[74:75], v[61:62], v[67:68]
	v_fma_f64 v[89:90], v[123:124], v[45:46], -v[143:144]
	v_fma_f64 v[91:92], v[121:122], v[45:46], v[145:146]
	v_and_b32_e32 v45, 0x3f0, v159
	v_fma_f64 v[81:82], v[141:142], v[41:42], -v[149:150]
	v_fma_f64 v[83:84], v[139:140], v[41:42], v[151:152]
	v_fma_f64 v[105:106], v[131:132], v[108:109], -v[153:154]
	v_fma_f64 v[107:108], v[129:130], v[108:109], v[69:70]
	;; [unrolled: 2-line block ×3, first 2 shown]
	v_lshrrev_b32_e32 v42, 2, v110
	v_lshrrev_b32_e32 v43, 8, v110
	v_and_b32_e32 v44, 0x3f0, v76
	v_and_b32_e32 v46, 63, v110
	v_lshl_add_u32 v41, v71, 4, 0
	v_and_b32_e32 v42, 0x3f0, v42
	v_and_b32_e32 v43, 0x3f0, v43
	v_add_nc_u32_e32 v44, s6, v44
	v_add_nc_u32_e32 v45, s6, v45
	v_lshl_add_u32 v46, v46, 4, 0
	v_add_nc_u32_e32 v47, s6, v42
	v_add_nc_u32_e32 v48, s6, v43
	ds_load_b128 v[61:64], v41 offset:30720
	ds_load_b128 v[65:68], v44 offset:1024
	;; [unrolled: 1-line block ×6, first 2 shown]
	s_mov_b32 s6, 0
	s_wait_alu 0xfffe
	s_cbranch_vccz .LBB0_46
; %bb.43:
	s_mov_b32 s7, 0
                                        ; implicit-def: $vgpr109_vgpr110
	s_and_saveexec_b32 s8, s1
	s_wait_alu 0xfffe
	s_xor_b32 s1, exec_lo, s8
	s_cbranch_execz .LBB0_45
; %bb.44:
	v_mad_co_u64_u32 v[109:110], null, s14, v117, 0
	v_mad_co_u64_u32 v[123:124], null, s12, v116, 0
	;; [unrolled: 1-line block ×3, first 2 shown]
	v_mad_u32_u24 v133, 0x78, v0, v120
	s_lshl_b64 s[8:9], s[2:3], 4
	s_delay_alu instid0(VALU_DEP_4) | instskip(NEXT) | instid1(VALU_DEP_4)
	v_mad_co_u64_u32 v[125:126], null, s15, v117, v[110:111]
	v_mov_b32_e32 v110, v124
	v_mad_co_u64_u32 v[126:127], null, s12, v118, 0
	v_mad_co_u64_u32 v[128:129], null, s13, v115, v[122:123]
	s_delay_alu instid0(VALU_DEP_3) | instskip(SKIP_1) | instid1(VALU_DEP_4)
	v_mad_co_u64_u32 v[129:130], null, s13, v116, v[110:111]
	v_dual_mov_b32 v110, v125 :: v_dual_add_nc_u32 v135, 0x50, v133
	v_mov_b32_e32 v124, v127
	s_wait_alu 0xfffe
	s_add_nc_u64 s[8:9], s[4:5], s[8:9]
	s_delay_alu instid0(VALU_DEP_4)
	v_mov_b32_e32 v122, v128
	v_lshlrev_b64_e32 v[109:110], 4, v[109:110]
	v_mad_co_u64_u32 v[130:131], null, s12, v119, 0
	v_mad_co_u64_u32 v[127:128], null, s13, v118, v[124:125]
	v_mov_b32_e32 v124, v129
	v_lshlrev_b64_e32 v[121:122], 4, v[121:122]
	s_wait_alu 0xfffe
	v_add_co_u32 v109, vcc_lo, s8, v109
	s_wait_alu 0xfffd
	v_add_co_ci_u32_e32 v110, vcc_lo, s9, v110, vcc_lo
	v_lshlrev_b64_e32 v[123:124], 4, v[123:124]
	s_delay_alu instid0(VALU_DEP_3) | instskip(SKIP_1) | instid1(VALU_DEP_3)
	v_add_co_u32 v121, vcc_lo, v109, v121
	s_wait_alu 0xfffd
	v_add_co_ci_u32_e32 v122, vcc_lo, v110, v122, vcc_lo
	v_add_nc_u32_e32 v134, 40, v133
	s_delay_alu instid0(VALU_DEP_4)
	v_add_co_u32 v123, vcc_lo, v109, v123
	s_wait_alu 0xfffd
	v_add_co_ci_u32_e32 v124, vcc_lo, v110, v124, vcc_lo
	global_store_b128 v[121:122], v[105:108], off
	v_dual_mov_b32 v121, v131 :: v_dual_add_nc_u32 v136, 0x78, v133
	global_store_b128 v[123:124], v[97:100], off
	v_lshlrev_b64_e32 v[122:123], 4, v[126:127]
	v_mad_co_u64_u32 v[127:128], null, s12, v134, 0
	s_and_b32 s6, s0, exec_lo
	s_delay_alu instid0(VALU_DEP_2) | instskip(SKIP_4) | instid1(VALU_DEP_4)
	v_mad_co_u64_u32 v[124:125], null, s13, v119, v[121:122]
	v_add_co_u32 v121, vcc_lo, v109, v122
	v_mad_co_u64_u32 v[125:126], null, s12, v133, 0
	s_wait_alu 0xfffd
	v_add_co_ci_u32_e32 v122, vcc_lo, v110, v123, vcc_lo
	v_dual_mov_b32 v131, v124 :: v_dual_mov_b32 v124, v128
	global_store_b128 v[121:122], v[101:104], off
	v_mad_co_u64_u32 v[122:123], null, s12, v135, 0
	v_mov_b32_e32 v121, v126
	v_lshlrev_b64_e32 v[129:130], 4, v[130:131]
	s_delay_alu instid0(VALU_DEP_2)
	v_mad_co_u64_u32 v[131:132], null, s13, v133, v[121:122]
	v_mad_co_u64_u32 v[132:133], null, s13, v134, v[124:125]
	v_mad_co_u64_u32 v[133:134], null, s12, v136, 0
	v_mov_b32_e32 v121, v123
	v_add_co_u32 v123, vcc_lo, v109, v129
	s_wait_alu 0xfffd
	v_add_co_ci_u32_e32 v124, vcc_lo, v110, v130, vcc_lo
	s_delay_alu instid0(VALU_DEP_3)
	v_mad_co_u64_u32 v[129:130], null, s13, v135, v[121:122]
	v_dual_mov_b32 v121, v134 :: v_dual_mov_b32 v126, v131
	v_mov_b32_e32 v128, v132
	global_store_b128 v[123:124], v[85:88], off
	v_mad_co_u64_u32 v[130:131], null, s13, v136, v[121:122]
	v_lshlrev_b64_e32 v[124:125], 4, v[125:126]
	v_mov_b32_e32 v123, v129
	v_lshlrev_b64_e32 v[126:127], 4, v[127:128]
	s_delay_alu instid0(VALU_DEP_4) | instskip(NEXT) | instid1(VALU_DEP_4)
	v_mov_b32_e32 v134, v130
	v_add_co_u32 v124, vcc_lo, v109, v124
	s_delay_alu instid0(VALU_DEP_4)
	v_lshlrev_b64_e32 v[121:122], 4, v[122:123]
	s_wait_alu 0xfffd
	v_add_co_ci_u32_e32 v125, vcc_lo, v110, v125, vcc_lo
	v_add_co_u32 v126, vcc_lo, v109, v126
	v_lshlrev_b64_e32 v[128:129], 4, v[133:134]
	s_wait_alu 0xfffd
	v_add_co_ci_u32_e32 v127, vcc_lo, v110, v127, vcc_lo
	v_add_co_u32 v121, vcc_lo, v109, v121
	s_wait_alu 0xfffd
	v_add_co_ci_u32_e32 v122, vcc_lo, v110, v122, vcc_lo
	v_add_co_u32 v128, vcc_lo, v109, v128
	s_wait_alu 0xfffd
	v_add_co_ci_u32_e32 v129, vcc_lo, v110, v129, vcc_lo
	s_clause 0x3
	global_store_b128 v[124:125], v[93:96], off
	global_store_b128 v[126:127], v[89:92], off
	;; [unrolled: 1-line block ×4, first 2 shown]
.LBB0_45:
	s_wait_alu 0xfffe
	s_or_b32 exec_lo, exec_lo, s1
	s_delay_alu instid0(SALU_CYCLE_1)
	s_and_b32 vcc_lo, exec_lo, s7
	s_wait_alu 0xfffe
	s_cbranch_vccnz .LBB0_47
	s_branch .LBB0_48
.LBB0_46:
                                        ; implicit-def: $vgpr109_vgpr110
	s_cbranch_execz .LBB0_48
.LBB0_47:
	v_mad_co_u64_u32 v[109:110], null, s14, v117, 0
	v_mad_co_u64_u32 v[123:124], null, s12, v116, 0
	;; [unrolled: 1-line block ×3, first 2 shown]
	v_mad_u32_u24 v131, 0x78, v0, v120
	s_lshl_b64 s[2:3], s[2:3], 4
	s_delay_alu instid0(VALU_DEP_4) | instskip(SKIP_4) | instid1(VALU_DEP_3)
	v_mad_co_u64_u32 v[125:126], null, s15, v117, v[110:111]
	v_mad_co_u64_u32 v[126:127], null, s12, v118, 0
	v_mov_b32_e32 v0, v124
	v_mad_co_u64_u32 v[128:129], null, s13, v115, v[122:123]
	v_mad_co_u64_u32 v[129:130], null, s12, v119, 0
	;; [unrolled: 1-line block ×3, first 2 shown]
	v_dual_mov_b32 v110, v125 :: v_dual_mov_b32 v115, v127
	s_delay_alu instid0(VALU_DEP_4) | instskip(SKIP_2) | instid1(VALU_DEP_4)
	v_mov_b32_e32 v122, v128
	s_wait_alu 0xfffe
	s_add_nc_u64 s[2:3], s[4:5], s[2:3]
	v_mov_b32_e32 v0, v130
	v_lshlrev_b64_e32 v[109:110], 4, v[109:110]
	v_mad_co_u64_u32 v[117:118], null, s13, v118, v[115:116]
	v_mov_b32_e32 v124, v116
	s_and_not1_b32 s1, s6, exec_lo
	s_and_b32 s0, s0, exec_lo
	s_wait_alu 0xfffe
	v_add_co_u32 v109, vcc_lo, s2, v109
	s_wait_alu 0xfffd
	v_add_co_ci_u32_e32 v110, vcc_lo, s3, v110, vcc_lo
	v_mov_b32_e32 v127, v117
	v_lshlrev_b64_e32 v[117:118], 4, v[123:124]
	v_mad_co_u64_u32 v[124:125], null, s13, v119, v[0:1]
	v_add_nc_u32_e32 v119, 40, v131
	v_lshlrev_b64_e32 v[120:121], 4, v[121:122]
	v_lshlrev_b64_e32 v[122:123], 4, v[126:127]
	s_or_b32 s6, s1, s0
	s_delay_alu instid0(VALU_DEP_4) | instskip(NEXT) | instid1(VALU_DEP_3)
	v_mov_b32_e32 v130, v124
	v_add_co_u32 v115, vcc_lo, v109, v120
	s_wait_alu 0xfffd
	v_add_co_ci_u32_e32 v116, vcc_lo, v110, v121, vcc_lo
	v_mad_co_u64_u32 v[120:121], null, s12, v131, 0
	v_add_co_u32 v117, vcc_lo, v109, v117
	s_wait_alu 0xfffd
	v_add_co_ci_u32_e32 v118, vcc_lo, v110, v118, vcc_lo
	s_delay_alu instid0(VALU_DEP_3) | instskip(SKIP_3) | instid1(VALU_DEP_3)
	v_mov_b32_e32 v0, v121
	v_add_co_u32 v121, vcc_lo, v109, v122
	s_wait_alu 0xfffd
	v_add_co_ci_u32_e32 v122, vcc_lo, v110, v123, vcc_lo
	v_mad_co_u64_u32 v[123:124], null, s13, v131, v[0:1]
	v_mad_co_u64_u32 v[124:125], null, s12, v119, 0
	s_clause 0x2
	global_store_b128 v[115:116], v[105:108], off
	global_store_b128 v[117:118], v[97:100], off
	;; [unrolled: 1-line block ×3, first 2 shown]
	v_add_nc_u32_e32 v104, 0x50, v131
	v_add_nc_u32_e32 v107, 0x78, v131
	v_mov_b32_e32 v121, v123
	s_delay_alu instid0(VALU_DEP_3) | instskip(SKIP_1) | instid1(VALU_DEP_1)
	v_mad_co_u64_u32 v[99:100], null, s12, v104, 0
	v_mov_b32_e32 v0, v125
	v_mad_co_u64_u32 v[101:102], null, s13, v119, v[0:1]
	s_delay_alu instid0(VALU_DEP_3) | instskip(SKIP_1) | instid1(VALU_DEP_2)
	v_mov_b32_e32 v0, v100
	v_mad_co_u64_u32 v[102:103], null, s12, v107, 0
	v_mad_co_u64_u32 v[104:105], null, s13, v104, v[0:1]
	s_delay_alu instid0(VALU_DEP_4) | instskip(SKIP_1) | instid1(VALU_DEP_2)
	v_mov_b32_e32 v125, v101
	v_lshlrev_b64_e32 v[100:101], 4, v[120:121]
	v_lshlrev_b64_e32 v[105:106], 4, v[124:125]
	s_delay_alu instid0(VALU_DEP_4) | instskip(NEXT) | instid1(VALU_DEP_1)
	v_mad_co_u64_u32 v[107:108], null, s13, v107, v[103:104]
	v_mov_b32_e32 v103, v107
	v_lshlrev_b64_e32 v[97:98], 4, v[129:130]
	s_delay_alu instid0(VALU_DEP_1) | instskip(SKIP_1) | instid1(VALU_DEP_2)
	v_add_co_u32 v97, vcc_lo, v109, v97
	s_wait_alu 0xfffd
	v_add_co_ci_u32_e32 v98, vcc_lo, v110, v98, vcc_lo
	v_add_co_u32 v115, vcc_lo, v109, v100
	v_mov_b32_e32 v100, v104
	s_wait_alu 0xfffd
	v_add_co_ci_u32_e32 v116, vcc_lo, v110, v101, vcc_lo
	v_add_co_u32 v104, vcc_lo, v109, v105
	s_wait_alu 0xfffd
	v_add_co_ci_u32_e32 v105, vcc_lo, v110, v106, vcc_lo
	v_lshlrev_b64_e32 v[99:100], 4, v[99:100]
	s_clause 0x2
	global_store_b128 v[97:98], v[85:88], off
	global_store_b128 v[115:116], v[93:96], off
	;; [unrolled: 1-line block ×3, first 2 shown]
	v_lshlrev_b64_e32 v[85:86], 4, v[102:103]
	v_add_co_u32 v87, vcc_lo, v109, v99
	s_wait_alu 0xfffd
	v_add_co_ci_u32_e32 v88, vcc_lo, v110, v100, vcc_lo
	s_delay_alu instid0(VALU_DEP_3)
	v_add_co_u32 v85, vcc_lo, v109, v85
	s_wait_alu 0xfffd
	v_add_co_ci_u32_e32 v86, vcc_lo, v110, v86, vcc_lo
	s_clause 0x1
	global_store_b128 v[87:88], v[81:84], off
	global_store_b128 v[85:86], v[77:80], off
.LBB0_48:
	s_wait_alu 0xfffe
	s_and_saveexec_b32 s0, s6
	s_cbranch_execnz .LBB0_50
; %bb.49:
	s_nop 0
	s_sendmsg sendmsg(MSG_DEALLOC_VGPRS)
	s_endpgm
.LBB0_50:
	s_wait_loadcnt 0x0
	v_mul_f64_e32 v[77:78], v[15:16], v[59:60]
	v_mul_f64_e32 v[59:60], v[13:14], v[59:60]
	;; [unrolled: 1-line block ×6, first 2 shown]
	v_fma_f64 v[13:14], v[13:14], v[57:58], -v[77:78]
	v_fma_f64 v[15:16], v[15:16], v[57:58], v[59:60]
	v_fma_f64 v[5:6], v[5:6], v[53:54], -v[79:80]
	v_fma_f64 v[7:8], v[7:8], v[53:54], v[55:56]
	v_fma_f64 v[3:4], v[3:4], v[49:50], v[81:82]
	v_fma_f64 v[0:1], v[1:2], v[49:50], -v[51:52]
	s_wait_dscnt 0xa
	v_mul_f64_e32 v[49:50], v[27:28], v[31:32]
	s_wait_dscnt 0x7
	v_mul_f64_e32 v[51:52], v[35:36], v[39:40]
	;; [unrolled: 2-line block ×4, first 2 shown]
	v_mul_f64_e32 v[31:32], v[25:26], v[31:32]
	v_mul_f64_e32 v[39:40], v[33:34], v[39:40]
	;; [unrolled: 1-line block ×4, first 2 shown]
	v_add_f64_e64 v[5:6], v[9:10], -v[5:6]
	v_add_f64_e64 v[7:8], v[11:12], -v[7:8]
	;; [unrolled: 1-line block ×4, first 2 shown]
	v_fma_f64 v[25:26], v[25:26], v[29:30], -v[49:50]
	v_fma_f64 v[33:34], v[33:34], v[37:38], -v[51:52]
	;; [unrolled: 1-line block ×4, first 2 shown]
	v_fma_f64 v[27:28], v[27:28], v[29:30], v[31:32]
	v_fma_f64 v[29:30], v[35:36], v[37:38], v[39:40]
	;; [unrolled: 1-line block ×4, first 2 shown]
	v_fma_f64 v[9:10], v[9:10], 2.0, -v[5:6]
	v_fma_f64 v[11:12], v[11:12], 2.0, -v[7:8]
	;; [unrolled: 1-line block ×4, first 2 shown]
	v_mul_f64_e32 v[37:38], v[25:26], v[19:20]
	v_mul_f64_e32 v[39:40], v[33:34], v[23:24]
	v_add_f64_e32 v[55:56], v[7:8], v[0:1]
	v_add_f64_e64 v[0:1], v[5:6], -v[2:3]
	s_wait_dscnt 0x0
	v_mul_f64_e32 v[53:54], v[49:50], v[47:48]
	v_mul_f64_e32 v[19:20], v[27:28], v[19:20]
	;; [unrolled: 1-line block ×4, first 2 shown]
	v_add_f64_e64 v[2:3], v[11:12], -v[15:16]
	v_add_f64_e64 v[13:14], v[9:10], -v[13:14]
	v_mul_f64_e32 v[15:16], v[51:52], v[43:44]
	v_fma_f64 v[27:28], v[17:18], v[27:28], v[37:38]
	v_fma_f64 v[29:30], v[21:22], v[29:30], v[39:40]
	v_fma_f64 v[7:8], v[7:8], 2.0, -v[55:56]
	v_fma_f64 v[4:5], v[5:6], 2.0, -v[0:1]
	v_mul_f64_e32 v[43:44], v[31:32], v[43:44]
	v_fma_f64 v[35:36], v[45:46], v[35:36], v[53:54]
	v_fma_f64 v[17:18], v[17:18], v[25:26], -v[19:20]
	v_fma_f64 v[19:20], v[21:22], v[33:34], -v[23:24]
	;; [unrolled: 1-line block ×3, first 2 shown]
	v_mad_co_u64_u32 v[39:40], null, s12, v111, 0
	v_mad_co_u64_u32 v[45:46], null, s12, v114, 0
	s_delay_alu instid0(VALU_DEP_2)
	v_mov_b32_e32 v6, v40
	v_fma_f64 v[11:12], v[11:12], 2.0, -v[2:3]
	v_fma_f64 v[9:10], v[9:10], 2.0, -v[13:14]
	v_fma_f64 v[15:16], v[41:42], v[31:32], v[15:16]
	v_mul_f64_e32 v[31:32], v[7:8], v[29:30]
	v_mul_f64_e32 v[29:30], v[4:5], v[29:30]
	v_fma_f64 v[21:22], v[41:42], v[51:52], -v[43:44]
	v_mul_f64_e32 v[25:26], v[55:56], v[35:36]
	v_mul_f64_e32 v[35:36], v[0:1], v[35:36]
	v_mad_co_u64_u32 v[41:42], null, s12, v112, 0
	v_mad_co_u64_u32 v[43:44], null, s12, v113, 0
	s_delay_alu instid0(VALU_DEP_2) | instskip(NEXT) | instid1(VALU_DEP_2)
	v_mov_b32_e32 v40, v42
	v_mov_b32_e32 v42, v44
	;; [unrolled: 1-line block ×3, first 2 shown]
	v_mad_co_u64_u32 v[46:47], null, s13, v111, v[6:7]
	s_delay_alu instid0(VALU_DEP_4) | instskip(NEXT) | instid1(VALU_DEP_2)
	v_mad_co_u64_u32 v[47:48], null, s13, v112, v[40:41]
	v_mov_b32_e32 v40, v46
	v_mul_f64_e32 v[33:34], v[11:12], v[27:28]
	v_mul_f64_e32 v[27:28], v[9:10], v[27:28]
	;; [unrolled: 1-line block ×4, first 2 shown]
	v_fma_f64 v[4:5], v[4:5], v[19:20], -v[31:32]
	v_fma_f64 v[6:7], v[7:8], v[19:20], v[29:30]
	v_fma_f64 v[0:1], v[0:1], v[23:24], -v[25:26]
	v_fma_f64 v[8:9], v[9:10], v[17:18], -v[33:34]
	v_fma_f64 v[10:11], v[11:12], v[17:18], v[27:28]
	v_fma_f64 v[12:13], v[13:14], v[21:22], -v[37:38]
	v_fma_f64 v[14:15], v[2:3], v[21:22], v[15:16]
	v_fma_f64 v[2:3], v[55:56], v[23:24], v[35:36]
	v_mad_co_u64_u32 v[16:17], null, s13, v113, v[42:43]
	v_mad_co_u64_u32 v[17:18], null, s13, v114, v[44:45]
	v_mov_b32_e32 v42, v47
	s_delay_alu instid0(VALU_DEP_3) | instskip(NEXT) | instid1(VALU_DEP_2)
	v_mov_b32_e32 v44, v16
	v_lshlrev_b64_e32 v[18:19], 4, v[41:42]
	s_delay_alu instid0(VALU_DEP_4) | instskip(SKIP_1) | instid1(VALU_DEP_4)
	v_mov_b32_e32 v46, v17
	v_lshlrev_b64_e32 v[16:17], 4, v[39:40]
	v_lshlrev_b64_e32 v[20:21], 4, v[43:44]
	s_delay_alu instid0(VALU_DEP_3) | instskip(NEXT) | instid1(VALU_DEP_3)
	v_lshlrev_b64_e32 v[22:23], 4, v[45:46]
	v_add_co_u32 v16, vcc_lo, v109, v16
	s_wait_alu 0xfffd
	s_delay_alu instid0(VALU_DEP_4)
	v_add_co_ci_u32_e32 v17, vcc_lo, v110, v17, vcc_lo
	v_add_co_u32 v18, vcc_lo, v109, v18
	s_wait_alu 0xfffd
	v_add_co_ci_u32_e32 v19, vcc_lo, v110, v19, vcc_lo
	v_add_co_u32 v20, vcc_lo, v109, v20
	s_wait_alu 0xfffd
	;; [unrolled: 3-line block ×3, first 2 shown]
	v_add_co_ci_u32_e32 v23, vcc_lo, v110, v23, vcc_lo
	s_clause 0x3
	global_store_b128 v[16:17], v[8:11], off
	global_store_b128 v[18:19], v[4:7], off
	global_store_b128 v[20:21], v[12:15], off
	global_store_b128 v[22:23], v[0:3], off
	s_nop 0
	s_sendmsg sendmsg(MSG_DEALLOC_VGPRS)
	s_endpgm
	.section	.rodata,"a",@progbits
	.p2align	6, 0x0
	.amdhsa_kernel fft_rtc_fwd_len160_factors_4_10_4_wgs_192_tpt_16_dp_op_CI_CI_sbcc_twdbase6_3step_dirReg_intrinsicRead
		.amdhsa_group_segment_fixed_size 0
		.amdhsa_private_segment_fixed_size 0
		.amdhsa_kernarg_size 112
		.amdhsa_user_sgpr_count 2
		.amdhsa_user_sgpr_dispatch_ptr 0
		.amdhsa_user_sgpr_queue_ptr 0
		.amdhsa_user_sgpr_kernarg_segment_ptr 1
		.amdhsa_user_sgpr_dispatch_id 0
		.amdhsa_user_sgpr_private_segment_size 0
		.amdhsa_wavefront_size32 1
		.amdhsa_uses_dynamic_stack 0
		.amdhsa_enable_private_segment 0
		.amdhsa_system_sgpr_workgroup_id_x 1
		.amdhsa_system_sgpr_workgroup_id_y 0
		.amdhsa_system_sgpr_workgroup_id_z 0
		.amdhsa_system_sgpr_workgroup_info 0
		.amdhsa_system_vgpr_workitem_id 0
		.amdhsa_next_free_vgpr 167
		.amdhsa_next_free_sgpr 60
		.amdhsa_reserve_vcc 1
		.amdhsa_float_round_mode_32 0
		.amdhsa_float_round_mode_16_64 0
		.amdhsa_float_denorm_mode_32 3
		.amdhsa_float_denorm_mode_16_64 3
		.amdhsa_fp16_overflow 0
		.amdhsa_workgroup_processor_mode 1
		.amdhsa_memory_ordered 1
		.amdhsa_forward_progress 0
		.amdhsa_round_robin_scheduling 0
		.amdhsa_exception_fp_ieee_invalid_op 0
		.amdhsa_exception_fp_denorm_src 0
		.amdhsa_exception_fp_ieee_div_zero 0
		.amdhsa_exception_fp_ieee_overflow 0
		.amdhsa_exception_fp_ieee_underflow 0
		.amdhsa_exception_fp_ieee_inexact 0
		.amdhsa_exception_int_div_zero 0
	.end_amdhsa_kernel
	.text
.Lfunc_end0:
	.size	fft_rtc_fwd_len160_factors_4_10_4_wgs_192_tpt_16_dp_op_CI_CI_sbcc_twdbase6_3step_dirReg_intrinsicRead, .Lfunc_end0-fft_rtc_fwd_len160_factors_4_10_4_wgs_192_tpt_16_dp_op_CI_CI_sbcc_twdbase6_3step_dirReg_intrinsicRead
                                        ; -- End function
	.section	.AMDGPU.csdata,"",@progbits
; Kernel info:
; codeLenInByte = 9744
; NumSgprs: 62
; NumVgprs: 167
; ScratchSize: 0
; MemoryBound: 0
; FloatMode: 240
; IeeeMode: 1
; LDSByteSize: 0 bytes/workgroup (compile time only)
; SGPRBlocks: 7
; VGPRBlocks: 20
; NumSGPRsForWavesPerEU: 62
; NumVGPRsForWavesPerEU: 167
; Occupancy: 9
; WaveLimiterHint : 1
; COMPUTE_PGM_RSRC2:SCRATCH_EN: 0
; COMPUTE_PGM_RSRC2:USER_SGPR: 2
; COMPUTE_PGM_RSRC2:TRAP_HANDLER: 0
; COMPUTE_PGM_RSRC2:TGID_X_EN: 1
; COMPUTE_PGM_RSRC2:TGID_Y_EN: 0
; COMPUTE_PGM_RSRC2:TGID_Z_EN: 0
; COMPUTE_PGM_RSRC2:TIDIG_COMP_CNT: 0
	.text
	.p2alignl 7, 3214868480
	.fill 96, 4, 3214868480
	.type	__hip_cuid_62452e1d27bd8527,@object ; @__hip_cuid_62452e1d27bd8527
	.section	.bss,"aw",@nobits
	.globl	__hip_cuid_62452e1d27bd8527
__hip_cuid_62452e1d27bd8527:
	.byte	0                               ; 0x0
	.size	__hip_cuid_62452e1d27bd8527, 1

	.ident	"AMD clang version 19.0.0git (https://github.com/RadeonOpenCompute/llvm-project roc-6.4.0 25133 c7fe45cf4b819c5991fe208aaa96edf142730f1d)"
	.section	".note.GNU-stack","",@progbits
	.addrsig
	.addrsig_sym __hip_cuid_62452e1d27bd8527
	.amdgpu_metadata
---
amdhsa.kernels:
  - .args:
      - .actual_access:  read_only
        .address_space:  global
        .offset:         0
        .size:           8
        .value_kind:     global_buffer
      - .address_space:  global
        .offset:         8
        .size:           8
        .value_kind:     global_buffer
      - .offset:         16
        .size:           8
        .value_kind:     by_value
      - .actual_access:  read_only
        .address_space:  global
        .offset:         24
        .size:           8
        .value_kind:     global_buffer
      - .actual_access:  read_only
        .address_space:  global
        .offset:         32
        .size:           8
        .value_kind:     global_buffer
      - .actual_access:  read_only
        .address_space:  global
        .offset:         40
        .size:           8
        .value_kind:     global_buffer
      - .offset:         48
        .size:           8
        .value_kind:     by_value
      - .actual_access:  read_only
        .address_space:  global
        .offset:         56
        .size:           8
        .value_kind:     global_buffer
      - .actual_access:  read_only
        .address_space:  global
        .offset:         64
        .size:           8
        .value_kind:     global_buffer
      - .offset:         72
        .size:           4
        .value_kind:     by_value
      - .actual_access:  read_only
        .address_space:  global
        .offset:         80
        .size:           8
        .value_kind:     global_buffer
      - .actual_access:  read_only
        .address_space:  global
        .offset:         88
        .size:           8
        .value_kind:     global_buffer
      - .actual_access:  read_only
        .address_space:  global
        .offset:         96
        .size:           8
        .value_kind:     global_buffer
      - .actual_access:  write_only
        .address_space:  global
        .offset:         104
        .size:           8
        .value_kind:     global_buffer
    .group_segment_fixed_size: 0
    .kernarg_segment_align: 8
    .kernarg_segment_size: 112
    .language:       OpenCL C
    .language_version:
      - 2
      - 0
    .max_flat_workgroup_size: 192
    .name:           fft_rtc_fwd_len160_factors_4_10_4_wgs_192_tpt_16_dp_op_CI_CI_sbcc_twdbase6_3step_dirReg_intrinsicRead
    .private_segment_fixed_size: 0
    .sgpr_count:     62
    .sgpr_spill_count: 0
    .symbol:         fft_rtc_fwd_len160_factors_4_10_4_wgs_192_tpt_16_dp_op_CI_CI_sbcc_twdbase6_3step_dirReg_intrinsicRead.kd
    .uniform_work_group_size: 1
    .uses_dynamic_stack: false
    .vgpr_count:     167
    .vgpr_spill_count: 0
    .wavefront_size: 32
    .workgroup_processor_mode: 1
amdhsa.target:   amdgcn-amd-amdhsa--gfx1201
amdhsa.version:
  - 1
  - 2
...

	.end_amdgpu_metadata
